;; amdgpu-corpus repo=ROCm/rocFFT kind=compiled arch=gfx906 opt=O3
	.text
	.amdgcn_target "amdgcn-amd-amdhsa--gfx906"
	.amdhsa_code_object_version 6
	.protected	fft_rtc_back_len1859_factors_13_11_13_wgs_169_tpt_169_halfLds_dp_op_CI_CI_unitstride_sbrr_dirReg ; -- Begin function fft_rtc_back_len1859_factors_13_11_13_wgs_169_tpt_169_halfLds_dp_op_CI_CI_unitstride_sbrr_dirReg
	.globl	fft_rtc_back_len1859_factors_13_11_13_wgs_169_tpt_169_halfLds_dp_op_CI_CI_unitstride_sbrr_dirReg
	.p2align	8
	.type	fft_rtc_back_len1859_factors_13_11_13_wgs_169_tpt_169_halfLds_dp_op_CI_CI_unitstride_sbrr_dirReg,@function
fft_rtc_back_len1859_factors_13_11_13_wgs_169_tpt_169_halfLds_dp_op_CI_CI_unitstride_sbrr_dirReg: ; @fft_rtc_back_len1859_factors_13_11_13_wgs_169_tpt_169_halfLds_dp_op_CI_CI_unitstride_sbrr_dirReg
; %bb.0:
	s_load_dwordx4 s[8:11], s[4:5], 0x58
	s_load_dwordx4 s[12:15], s[4:5], 0x0
	;; [unrolled: 1-line block ×3, first 2 shown]
	v_mul_u32_u24_e32 v1, 0x184, v0
	v_add_u32_sdwa v5, s6, v1 dst_sel:DWORD dst_unused:UNUSED_PAD src0_sel:DWORD src1_sel:WORD_1
	v_mov_b32_e32 v3, 0
	s_waitcnt lgkmcnt(0)
	v_cmp_lt_u64_e64 s[0:1], s[14:15], 2
	v_mov_b32_e32 v1, 0
	v_mov_b32_e32 v6, v3
	s_and_b64 vcc, exec, s[0:1]
	v_mov_b32_e32 v2, 0
	s_cbranch_vccnz .LBB0_8
; %bb.1:
	s_load_dwordx2 s[0:1], s[4:5], 0x10
	s_add_u32 s2, s18, 8
	s_addc_u32 s3, s19, 0
	s_add_u32 s6, s16, 8
	v_mov_b32_e32 v1, 0
	s_addc_u32 s7, s17, 0
	v_mov_b32_e32 v2, 0
	s_waitcnt lgkmcnt(0)
	s_add_u32 s20, s0, 8
	v_mov_b32_e32 v79, v2
	s_addc_u32 s21, s1, 0
	s_mov_b64 s[22:23], 1
	v_mov_b32_e32 v78, v1
.LBB0_2:                                ; =>This Inner Loop Header: Depth=1
	s_load_dwordx2 s[24:25], s[20:21], 0x0
                                        ; implicit-def: $vgpr82_vgpr83
	s_waitcnt lgkmcnt(0)
	v_or_b32_e32 v4, s25, v6
	v_cmp_ne_u64_e32 vcc, 0, v[3:4]
	s_and_saveexec_b64 s[0:1], vcc
	s_xor_b64 s[26:27], exec, s[0:1]
	s_cbranch_execz .LBB0_4
; %bb.3:                                ;   in Loop: Header=BB0_2 Depth=1
	v_cvt_f32_u32_e32 v4, s24
	v_cvt_f32_u32_e32 v7, s25
	s_sub_u32 s0, 0, s24
	s_subb_u32 s1, 0, s25
	v_mac_f32_e32 v4, 0x4f800000, v7
	v_rcp_f32_e32 v4, v4
	v_mul_f32_e32 v4, 0x5f7ffffc, v4
	v_mul_f32_e32 v7, 0x2f800000, v4
	v_trunc_f32_e32 v7, v7
	v_mac_f32_e32 v4, 0xcf800000, v7
	v_cvt_u32_f32_e32 v7, v7
	v_cvt_u32_f32_e32 v4, v4
	v_mul_lo_u32 v8, s0, v7
	v_mul_hi_u32 v9, s0, v4
	v_mul_lo_u32 v11, s1, v4
	v_mul_lo_u32 v10, s0, v4
	v_add_u32_e32 v8, v9, v8
	v_add_u32_e32 v8, v8, v11
	v_mul_hi_u32 v9, v4, v10
	v_mul_lo_u32 v11, v4, v8
	v_mul_hi_u32 v13, v4, v8
	v_mul_hi_u32 v12, v7, v10
	v_mul_lo_u32 v10, v7, v10
	v_mul_hi_u32 v14, v7, v8
	v_add_co_u32_e32 v9, vcc, v9, v11
	v_addc_co_u32_e32 v11, vcc, 0, v13, vcc
	v_mul_lo_u32 v8, v7, v8
	v_add_co_u32_e32 v9, vcc, v9, v10
	v_addc_co_u32_e32 v9, vcc, v11, v12, vcc
	v_addc_co_u32_e32 v10, vcc, 0, v14, vcc
	v_add_co_u32_e32 v8, vcc, v9, v8
	v_addc_co_u32_e32 v9, vcc, 0, v10, vcc
	v_add_co_u32_e32 v4, vcc, v4, v8
	v_addc_co_u32_e32 v7, vcc, v7, v9, vcc
	v_mul_lo_u32 v8, s0, v7
	v_mul_hi_u32 v9, s0, v4
	v_mul_lo_u32 v10, s1, v4
	v_mul_lo_u32 v11, s0, v4
	v_add_u32_e32 v8, v9, v8
	v_add_u32_e32 v8, v8, v10
	v_mul_lo_u32 v12, v4, v8
	v_mul_hi_u32 v13, v4, v11
	v_mul_hi_u32 v14, v4, v8
	v_mul_hi_u32 v10, v7, v11
	v_mul_lo_u32 v11, v7, v11
	v_mul_hi_u32 v9, v7, v8
	v_add_co_u32_e32 v12, vcc, v13, v12
	v_addc_co_u32_e32 v13, vcc, 0, v14, vcc
	v_mul_lo_u32 v8, v7, v8
	v_add_co_u32_e32 v11, vcc, v12, v11
	v_addc_co_u32_e32 v10, vcc, v13, v10, vcc
	v_addc_co_u32_e32 v9, vcc, 0, v9, vcc
	v_add_co_u32_e32 v8, vcc, v10, v8
	v_addc_co_u32_e32 v9, vcc, 0, v9, vcc
	v_add_co_u32_e32 v4, vcc, v4, v8
	v_addc_co_u32_e32 v9, vcc, v7, v9, vcc
	v_mad_u64_u32 v[7:8], s[0:1], v5, v9, 0
	v_mul_hi_u32 v10, v5, v4
	v_add_co_u32_e32 v11, vcc, v10, v7
	v_addc_co_u32_e32 v12, vcc, 0, v8, vcc
	v_mad_u64_u32 v[7:8], s[0:1], v6, v4, 0
	v_mad_u64_u32 v[9:10], s[0:1], v6, v9, 0
	v_add_co_u32_e32 v4, vcc, v11, v7
	v_addc_co_u32_e32 v4, vcc, v12, v8, vcc
	v_addc_co_u32_e32 v7, vcc, 0, v10, vcc
	v_add_co_u32_e32 v4, vcc, v4, v9
	v_addc_co_u32_e32 v9, vcc, 0, v7, vcc
	v_mul_lo_u32 v10, s25, v4
	v_mul_lo_u32 v11, s24, v9
	v_mad_u64_u32 v[7:8], s[0:1], s24, v4, 0
	v_add3_u32 v8, v8, v11, v10
	v_sub_u32_e32 v10, v6, v8
	v_mov_b32_e32 v11, s25
	v_sub_co_u32_e32 v7, vcc, v5, v7
	v_subb_co_u32_e64 v10, s[0:1], v10, v11, vcc
	v_subrev_co_u32_e64 v11, s[0:1], s24, v7
	v_subbrev_co_u32_e64 v10, s[0:1], 0, v10, s[0:1]
	v_cmp_le_u32_e64 s[0:1], s25, v10
	v_cndmask_b32_e64 v12, 0, -1, s[0:1]
	v_cmp_le_u32_e64 s[0:1], s24, v11
	v_cndmask_b32_e64 v11, 0, -1, s[0:1]
	v_cmp_eq_u32_e64 s[0:1], s25, v10
	v_cndmask_b32_e64 v10, v12, v11, s[0:1]
	v_add_co_u32_e64 v11, s[0:1], 2, v4
	v_addc_co_u32_e64 v12, s[0:1], 0, v9, s[0:1]
	v_add_co_u32_e64 v13, s[0:1], 1, v4
	v_addc_co_u32_e64 v14, s[0:1], 0, v9, s[0:1]
	v_subb_co_u32_e32 v8, vcc, v6, v8, vcc
	v_cmp_ne_u32_e64 s[0:1], 0, v10
	v_cmp_le_u32_e32 vcc, s25, v8
	v_cndmask_b32_e64 v10, v14, v12, s[0:1]
	v_cndmask_b32_e64 v12, 0, -1, vcc
	v_cmp_le_u32_e32 vcc, s24, v7
	v_cndmask_b32_e64 v7, 0, -1, vcc
	v_cmp_eq_u32_e32 vcc, s25, v8
	v_cndmask_b32_e32 v7, v12, v7, vcc
	v_cmp_ne_u32_e32 vcc, 0, v7
	v_cndmask_b32_e64 v7, v13, v11, s[0:1]
	v_cndmask_b32_e32 v83, v9, v10, vcc
	v_cndmask_b32_e32 v82, v4, v7, vcc
.LBB0_4:                                ;   in Loop: Header=BB0_2 Depth=1
	s_andn2_saveexec_b64 s[0:1], s[26:27]
	s_cbranch_execz .LBB0_6
; %bb.5:                                ;   in Loop: Header=BB0_2 Depth=1
	v_cvt_f32_u32_e32 v4, s24
	s_sub_i32 s26, 0, s24
	v_mov_b32_e32 v83, v3
	v_rcp_iflag_f32_e32 v4, v4
	v_mul_f32_e32 v4, 0x4f7ffffe, v4
	v_cvt_u32_f32_e32 v4, v4
	v_mul_lo_u32 v7, s26, v4
	v_mul_hi_u32 v7, v4, v7
	v_add_u32_e32 v4, v4, v7
	v_mul_hi_u32 v4, v5, v4
	v_mul_lo_u32 v7, v4, s24
	v_add_u32_e32 v8, 1, v4
	v_sub_u32_e32 v7, v5, v7
	v_subrev_u32_e32 v9, s24, v7
	v_cmp_le_u32_e32 vcc, s24, v7
	v_cndmask_b32_e32 v7, v7, v9, vcc
	v_cndmask_b32_e32 v4, v4, v8, vcc
	v_add_u32_e32 v8, 1, v4
	v_cmp_le_u32_e32 vcc, s24, v7
	v_cndmask_b32_e32 v82, v4, v8, vcc
.LBB0_6:                                ;   in Loop: Header=BB0_2 Depth=1
	s_or_b64 exec, exec, s[0:1]
	v_mul_lo_u32 v4, v83, s24
	v_mul_lo_u32 v9, v82, s25
	v_mad_u64_u32 v[7:8], s[0:1], v82, s24, 0
	s_load_dwordx2 s[0:1], s[6:7], 0x0
	s_load_dwordx2 s[24:25], s[2:3], 0x0
	v_add3_u32 v4, v8, v9, v4
	v_sub_co_u32_e32 v5, vcc, v5, v7
	v_subb_co_u32_e32 v4, vcc, v6, v4, vcc
	s_waitcnt lgkmcnt(0)
	v_mul_lo_u32 v6, s0, v4
	v_mul_lo_u32 v7, s1, v5
	v_mad_u64_u32 v[1:2], s[0:1], s0, v5, v[1:2]
	v_mul_lo_u32 v4, s24, v4
	v_mul_lo_u32 v8, s25, v5
	v_mad_u64_u32 v[78:79], s[0:1], s24, v5, v[78:79]
	s_add_u32 s22, s22, 1
	s_addc_u32 s23, s23, 0
	s_add_u32 s2, s2, 8
	v_add3_u32 v79, v8, v79, v4
	s_addc_u32 s3, s3, 0
	v_mov_b32_e32 v4, s14
	s_add_u32 s6, s6, 8
	v_mov_b32_e32 v5, s15
	s_addc_u32 s7, s7, 0
	v_cmp_ge_u64_e32 vcc, s[22:23], v[4:5]
	s_add_u32 s20, s20, 8
	v_add3_u32 v2, v7, v2, v6
	s_addc_u32 s21, s21, 0
	s_cbranch_vccnz .LBB0_9
; %bb.7:                                ;   in Loop: Header=BB0_2 Depth=1
	v_mov_b32_e32 v5, v82
	v_mov_b32_e32 v6, v83
	s_branch .LBB0_2
.LBB0_8:
	v_mov_b32_e32 v79, v2
	v_mov_b32_e32 v83, v6
	;; [unrolled: 1-line block ×4, first 2 shown]
.LBB0_9:
	s_mov_b32 s2, 0x183c978
	s_load_dwordx2 s[0:1], s[4:5], 0x28
	v_mul_hi_u32 v3, v0, s2
	s_lshl_b64 s[14:15], s[14:15], 3
	s_movk_i32 s2, 0x8f
	s_add_u32 s4, s18, s14
	v_mul_u32_u24_e32 v3, 0xa9, v3
	s_waitcnt lgkmcnt(0)
	v_cmp_gt_u64_e64 s[0:1], s[0:1], v[82:83]
	v_sub_u32_e32 v80, v0, v3
	v_cmp_gt_u32_e32 vcc, s2, v80
	s_addc_u32 s5, s19, s15
	s_and_b64 s[2:3], s[0:1], vcc
                                        ; implicit-def: $vgpr16_vgpr17
                                        ; implicit-def: $vgpr12_vgpr13
                                        ; implicit-def: $vgpr20_vgpr21
                                        ; implicit-def: $vgpr24_vgpr25
                                        ; implicit-def: $vgpr28_vgpr29
                                        ; implicit-def: $vgpr32_vgpr33
                                        ; implicit-def: $vgpr40_vgpr41
                                        ; implicit-def: $vgpr52_vgpr53
                                        ; implicit-def: $vgpr56_vgpr57
                                        ; implicit-def: $vgpr48_vgpr49
                                        ; implicit-def: $vgpr44_vgpr45
                                        ; implicit-def: $vgpr36_vgpr37
                                        ; implicit-def: $vgpr8_vgpr9
	s_and_saveexec_b64 s[6:7], s[2:3]
	s_cbranch_execz .LBB0_11
; %bb.10:
	s_add_u32 s0, s16, s14
	s_addc_u32 s1, s17, s15
	s_load_dwordx2 s[0:1], s[0:1], 0x0
	v_mov_b32_e32 v6, s9
	v_mov_b32_e32 v81, 0
	s_waitcnt lgkmcnt(0)
	v_mul_lo_u32 v0, s1, v82
	v_mul_lo_u32 v5, s0, v83
	v_mad_u64_u32 v[3:4], s[0:1], s0, v82, 0
	v_add3_u32 v4, v4, v5, v0
	v_lshlrev_b64 v[3:4], 4, v[3:4]
	v_lshlrev_b64 v[0:1], 4, v[1:2]
	v_add_co_u32_e64 v3, s[0:1], s8, v3
	v_addc_co_u32_e64 v4, s[0:1], v6, v4, s[0:1]
	v_add_co_u32_e64 v2, s[0:1], v3, v0
	v_addc_co_u32_e64 v3, s[0:1], v4, v1, s[0:1]
	v_lshlrev_b64 v[0:1], 4, v[80:81]
	v_add_co_u32_e64 v0, s[0:1], v2, v0
	v_addc_co_u32_e64 v1, s[0:1], v3, v1, s[0:1]
	s_movk_i32 s0, 0x1000
	v_add_co_u32_e64 v2, s[0:1], s0, v0
	v_addc_co_u32_e64 v3, s[0:1], 0, v1, s[0:1]
	s_movk_i32 s0, 0x2000
	global_load_dwordx4 v[6:9], v[0:1], off
	global_load_dwordx4 v[34:37], v[0:1], off offset:2288
	global_load_dwordx4 v[42:45], v[2:3], off offset:480
	;; [unrolled: 1-line block ×3, first 2 shown]
	v_add_co_u32_e64 v2, s[0:1], s0, v0
	v_addc_co_u32_e64 v3, s[0:1], 0, v1, s[0:1]
	s_movk_i32 s0, 0x3000
	v_add_co_u32_e64 v4, s[0:1], s0, v0
	v_addc_co_u32_e64 v5, s[0:1], 0, v1, s[0:1]
	s_movk_i32 s0, 0x4000
	;; [unrolled: 3-line block ×4, first 2 shown]
	v_add_co_u32_e64 v0, s[0:1], s0, v0
	v_addc_co_u32_e64 v1, s[0:1], 0, v1, s[0:1]
	global_load_dwordx4 v[54:57], v[2:3], off offset:960
	global_load_dwordx4 v[50:53], v[2:3], off offset:3248
	;; [unrolled: 1-line block ×9, first 2 shown]
.LBB0_11:
	s_or_b64 exec, exec, s[6:7]
	s_waitcnt vmcnt(0)
	v_add_f64 v[58:59], v[36:37], -v[16:17]
	s_mov_b32 s18, 0x4267c47c
	s_mov_b32 s24, 0x42a4c3d2
	;; [unrolled: 1-line block ×4, first 2 shown]
	v_add_f64 v[0:1], v[14:15], v[34:35]
	v_add_f64 v[66:67], v[44:45], -v[12:13]
	s_mov_b32 s0, 0xe00740e9
	v_mul_f64 v[60:61], v[58:59], s[18:19]
	v_mul_f64 v[64:65], v[58:59], s[24:25]
	s_mov_b32 s6, 0x1ea71119
	s_mov_b32 s22, 0x2ef20147
	;; [unrolled: 1-line block ×5, first 2 shown]
	v_add_f64 v[62:63], v[10:11], v[42:43]
	v_mul_f64 v[4:5], v[66:67], s[24:25]
	v_fma_f64 v[2:3], v[0:1], s[0:1], -v[60:61]
	v_mul_f64 v[74:75], v[66:67], s[22:23]
	v_fma_f64 v[68:69], v[0:1], s[6:7], -v[64:65]
	v_add_f64 v[96:97], v[48:49], -v[20:21]
	s_mov_b32 s8, 0xb2365da1
	s_mov_b32 s28, 0x66966769
	;; [unrolled: 1-line block ×6, first 2 shown]
	v_fma_f64 v[72:73], v[62:63], s[6:7], -v[4:5]
	v_add_f64 v[2:3], v[6:7], v[2:3]
	v_fma_f64 v[76:77], v[62:63], s[8:9], -v[74:75]
	v_add_f64 v[84:85], v[6:7], v[68:69]
	v_add_f64 v[70:71], v[18:19], v[46:47]
	v_mul_f64 v[68:69], v[96:97], s[28:29]
	v_mul_f64 v[90:91], v[96:97], s[26:27]
	v_add_f64 v[106:107], v[56:57], -v[24:25]
	s_mov_b32 s14, 0xebaa3ed8
	s_mov_b32 s16, 0x93053d00
	;; [unrolled: 1-line block ×6, first 2 shown]
	v_add_f64 v[2:3], v[72:73], v[2:3]
	v_add_f64 v[72:73], v[76:77], v[84:85]
	v_fma_f64 v[84:85], v[70:71], s[14:15], -v[68:69]
	v_fma_f64 v[86:87], v[70:71], s[16:17], -v[90:91]
	v_add_f64 v[98:99], v[22:23], v[54:55]
	v_mul_f64 v[76:77], v[106:107], s[22:23]
	v_mul_f64 v[102:103], v[106:107], s[30:31]
	v_add_f64 v[108:109], v[52:53], -v[28:29]
	s_mov_b32 s20, 0xd0032e0c
	s_mov_b32 s21, 0xbfe7f3cc
	;; [unrolled: 1-line block ×6, first 2 shown]
	v_add_f64 v[2:3], v[84:85], v[2:3]
	v_add_f64 v[84:85], v[86:87], v[72:73]
	v_fma_f64 v[88:89], v[98:99], s[8:9], -v[76:77]
	v_fma_f64 v[94:95], v[98:99], s[20:21], -v[102:103]
	v_add_f64 v[104:105], v[26:27], v[50:51]
	v_mul_f64 v[86:87], v[108:109], s[34:35]
	v_mul_f64 v[92:93], v[108:109], s[36:37]
	v_add_f64 v[72:73], v[40:41], -v[32:33]
	s_mov_b32 s39, 0x3fddbe06
	s_mov_b32 s38, s18
	v_add_f64 v[2:3], v[88:89], v[2:3]
	v_add_f64 v[84:85], v[94:95], v[84:85]
	;; [unrolled: 1-line block ×3, first 2 shown]
	v_fma_f64 v[110:111], v[104:105], s[20:21], -v[86:87]
	v_fma_f64 v[112:113], v[104:105], s[14:15], -v[92:93]
	v_mul_f64 v[88:89], v[72:73], s[26:27]
	v_mul_f64 v[94:95], v[72:73], s[38:39]
	v_add_f64 v[2:3], v[110:111], v[2:3]
	v_add_f64 v[110:111], v[112:113], v[84:85]
	v_fma_f64 v[84:85], v[100:101], s[16:17], -v[88:89]
	v_fma_f64 v[112:113], v[100:101], s[0:1], -v[94:95]
	v_add_f64 v[84:85], v[84:85], v[2:3]
	v_add_f64 v[2:3], v[112:113], v[110:111]
	s_and_saveexec_b64 s[40:41], vcc
	s_cbranch_execz .LBB0_13
; %bb.12:
	v_mul_f64 v[110:111], v[0:1], s[16:17]
	s_mov_b32 s43, 0x3fcea1e5
	s_mov_b32 s42, s26
	v_mul_f64 v[112:113], v[62:63], s[0:1]
	v_mul_f64 v[114:115], v[0:1], s[20:21]
	;; [unrolled: 1-line block ×5, first 2 shown]
	v_fma_f64 v[122:123], v[58:59], s[42:43], v[110:111]
	v_fma_f64 v[110:111], v[58:59], s[26:27], v[110:111]
	v_mul_f64 v[124:125], v[98:99], s[6:7]
	v_fma_f64 v[130:131], v[66:67], s[18:19], v[112:113]
	v_fma_f64 v[112:113], v[66:67], s[38:39], v[112:113]
	;; [unrolled: 1-line block ×5, first 2 shown]
	v_add_f64 v[122:123], v[6:7], v[122:123]
	v_add_f64 v[110:111], v[6:7], v[110:111]
	s_mov_b32 s45, 0x3fea55e2
	s_mov_b32 s44, s24
	v_mul_f64 v[126:127], v[98:99], s[16:17]
	v_add_f64 v[134:135], v[6:7], v[134:135]
	v_mul_f64 v[128:129], v[104:105], s[8:9]
	v_fma_f64 v[138:139], v[106:107], s[24:25], v[124:125]
	v_add_f64 v[122:123], v[130:131], v[122:123]
	v_add_f64 v[110:111], v[112:113], v[110:111]
	v_fma_f64 v[112:113], v[58:59], s[30:31], v[114:115]
	v_fma_f64 v[114:115], v[66:67], s[36:37], v[116:117]
	;; [unrolled: 1-line block ×4, first 2 shown]
	s_mov_b32 s47, 0x3fedeba7
	s_mov_b32 s46, s22
	v_add_f64 v[122:123], v[136:137], v[122:123]
	v_add_f64 v[110:111], v[118:119], v[110:111]
	v_fma_f64 v[118:119], v[96:97], s[24:25], v[120:121]
	v_add_f64 v[112:113], v[6:7], v[112:113]
	v_add_f64 v[114:115], v[114:115], v[134:135]
	v_mul_f64 v[132:133], v[100:101], s[14:15]
	v_fma_f64 v[136:137], v[108:109], s[46:47], v[128:129]
	v_fma_f64 v[120:121], v[96:97], s[44:45], v[120:121]
	v_add_f64 v[122:123], v[138:139], v[122:123]
	v_add_f64 v[110:111], v[124:125], v[110:111]
	v_fma_f64 v[124:125], v[106:107], s[42:43], v[126:127]
	v_add_f64 v[112:113], v[116:117], v[112:113]
	v_add_f64 v[114:115], v[118:119], v[114:115]
	v_mul_f64 v[118:119], v[0:1], s[8:9]
	v_fma_f64 v[128:129], v[108:109], s[22:23], v[128:129]
	v_fma_f64 v[134:135], v[72:73], s[28:29], v[132:133]
	v_add_f64 v[116:117], v[136:137], v[122:123]
	v_fma_f64 v[122:123], v[72:73], s[36:37], v[132:133]
	v_fma_f64 v[126:127], v[106:107], s[26:27], v[126:127]
	v_add_f64 v[112:113], v[120:121], v[112:113]
	v_add_f64 v[114:115], v[124:125], v[114:115]
	v_fma_f64 v[120:121], v[58:59], s[46:47], v[118:119]
	v_mul_f64 v[124:125], v[62:63], s[20:21]
	v_fma_f64 v[118:119], v[58:59], s[22:23], v[118:119]
	v_mul_f64 v[132:133], v[0:1], s[14:15]
	v_mul_f64 v[130:131], v[104:105], s[0:1]
	v_add_f64 v[110:111], v[128:129], v[110:111]
	v_add_f64 v[116:117], v[134:135], v[116:117]
	;; [unrolled: 1-line block ×4, first 2 shown]
	v_fma_f64 v[126:127], v[66:67], s[34:35], v[124:125]
	v_mul_f64 v[134:135], v[70:71], s[0:1]
	v_fma_f64 v[124:125], v[66:67], s[30:31], v[124:125]
	v_add_f64 v[118:119], v[6:7], v[118:119]
	v_fma_f64 v[138:139], v[58:59], s[36:37], v[132:133]
	v_add_f64 v[110:111], v[122:123], v[110:111]
	v_fma_f64 v[122:123], v[108:109], s[38:39], v[130:131]
	v_fma_f64 v[130:131], v[108:109], s[18:19], v[130:131]
	v_add_f64 v[120:121], v[126:127], v[120:121]
	v_fma_f64 v[126:127], v[96:97], s[18:19], v[134:135]
	v_mul_f64 v[140:141], v[98:99], s[14:15]
	v_add_f64 v[118:119], v[124:125], v[118:119]
	v_fma_f64 v[124:125], v[96:97], s[38:39], v[134:135]
	v_add_f64 v[134:135], v[6:7], v[138:139]
	v_add_f64 v[138:139], v[34:35], v[6:7]
	;; [unrolled: 1-line block ×3, first 2 shown]
	v_mul_f64 v[122:123], v[62:63], s[16:17]
	v_add_f64 v[112:113], v[130:131], v[112:113]
	v_mul_f64 v[144:145], v[70:71], s[8:9]
	v_mul_f64 v[128:129], v[100:101], s[8:9]
	v_add_f64 v[118:119], v[124:125], v[118:119]
	v_fma_f64 v[124:125], v[106:107], s[28:29], v[140:141]
	v_add_f64 v[130:131], v[42:43], v[138:139]
	v_add_f64 v[120:121], v[126:127], v[120:121]
	v_fma_f64 v[142:143], v[66:67], s[42:43], v[122:123]
	v_fma_f64 v[126:127], v[106:107], s[36:37], v[140:141]
	;; [unrolled: 1-line block ×4, first 2 shown]
	v_mul_f64 v[140:141], v[104:105], s[16:17]
	v_add_f64 v[118:119], v[124:125], v[118:119]
	v_add_f64 v[124:125], v[46:47], v[130:131]
	v_fma_f64 v[58:59], v[58:59], s[28:29], v[132:133]
	v_add_f64 v[134:135], v[142:143], v[134:135]
	v_add_f64 v[120:121], v[126:127], v[120:121]
	v_mul_f64 v[126:127], v[104:105], s[6:7]
	v_add_f64 v[114:115], v[136:137], v[114:115]
	v_fma_f64 v[132:133], v[108:109], s[26:27], v[140:141]
	v_fma_f64 v[66:67], v[66:67], s[26:27], v[122:123]
	v_add_f64 v[124:125], v[54:55], v[124:125]
	v_add_f64 v[58:59], v[6:7], v[58:59]
	;; [unrolled: 1-line block ×3, first 2 shown]
	v_mul_f64 v[138:139], v[0:1], s[6:7]
	v_mul_f64 v[0:1], v[0:1], s[0:1]
	v_fma_f64 v[134:135], v[108:109], s[42:43], v[140:141]
	v_fma_f64 v[136:137], v[108:109], s[44:45], v[126:127]
	v_fma_f64 v[108:109], v[108:109], s[24:25], v[126:127]
	v_add_f64 v[124:125], v[50:51], v[124:125]
	v_mul_f64 v[126:127], v[62:63], s[8:9]
	v_mul_f64 v[62:63], v[62:63], s[6:7]
	v_add_f64 v[64:65], v[64:65], v[138:139]
	v_add_f64 v[0:1], v[60:61], v[0:1]
	v_mul_f64 v[138:139], v[70:71], s[16:17]
	v_mul_f64 v[70:71], v[70:71], s[14:15]
	;; [unrolled: 1-line block ×3, first 2 shown]
	v_add_f64 v[60:61], v[38:39], v[124:125]
	v_add_f64 v[74:75], v[74:75], v[126:127]
	v_add_f64 v[4:5], v[4:5], v[62:63]
	v_add_f64 v[64:65], v[6:7], v[64:65]
	v_add_f64 v[0:1], v[6:7], v[0:1]
	v_fma_f64 v[96:97], v[96:97], s[46:47], v[144:145]
	v_add_f64 v[68:69], v[68:69], v[70:71]
	v_add_f64 v[58:59], v[66:67], v[58:59]
	;; [unrolled: 1-line block ×3, first 2 shown]
	v_fma_f64 v[66:67], v[106:107], s[18:19], v[122:123]
	v_fma_f64 v[106:107], v[106:107], s[38:39], v[122:123]
	v_add_f64 v[62:63], v[74:75], v[64:65]
	v_mul_f64 v[64:65], v[98:99], s[8:9]
	v_add_f64 v[0:1], v[4:5], v[0:1]
	v_mul_f64 v[122:123], v[98:99], s[20:21]
	v_add_f64 v[60:61], v[90:91], v[138:139]
	v_add_f64 v[4:5], v[26:27], v[6:7]
	v_mul_f64 v[70:71], v[104:105], s[20:21]
	v_add_f64 v[58:59], v[96:97], v[58:59]
	v_mul_f64 v[74:75], v[104:105], s[14:15]
	v_add_f64 v[64:65], v[76:77], v[64:65]
	v_add_f64 v[0:1], v[68:69], v[0:1]
	;; [unrolled: 1-line block ×5, first 2 shown]
	v_mul_f64 v[62:63], v[100:101], s[16:17]
	v_add_f64 v[70:71], v[86:87], v[70:71]
	v_mul_f64 v[76:77], v[100:101], s[0:1]
	v_mul_f64 v[98:99], v[100:101], s[20:21]
	v_add_f64 v[0:1], v[64:65], v[0:1]
	v_add_f64 v[58:59], v[106:107], v[58:59]
	;; [unrolled: 1-line block ×5, first 2 shown]
	v_mul_f64 v[6:7], v[100:101], s[6:7]
	v_add_f64 v[64:65], v[66:67], v[130:131]
	v_add_f64 v[62:63], v[88:89], v[62:63]
	;; [unrolled: 1-line block ×3, first 2 shown]
	v_fma_f64 v[66:67], v[72:73], s[34:35], v[98:99]
	v_add_f64 v[58:59], v[108:109], v[58:59]
	v_add_f64 v[4:5], v[10:11], v[4:5]
	v_add_f64 v[76:77], v[94:95], v[76:77]
	v_add_f64 v[60:61], v[74:75], v[60:61]
	v_fma_f64 v[68:69], v[72:73], s[24:25], v[6:7]
	v_fma_f64 v[6:7], v[72:73], s[44:45], v[6:7]
	v_add_f64 v[70:71], v[134:135], v[118:119]
	v_fma_f64 v[90:91], v[72:73], s[46:47], v[128:129]
	v_add_f64 v[74:75], v[132:133], v[120:121]
	;; [unrolled: 2-line block ×3, first 2 shown]
	v_add_f64 v[0:1], v[62:63], v[0:1]
	v_add_f64 v[4:5], v[14:15], v[4:5]
	;; [unrolled: 1-line block ×8, first 2 shown]
	s_movk_i32 s33, 0x68
	v_mad_u32_u24 v68, v80, s33, 0
	ds_write2_b64 v68, v[4:5], v[0:1] offset1:1
	ds_write2_b64 v68, v[60:61], v[58:59] offset0:2 offset1:3
	ds_write2_b64 v68, v[6:7], v[114:115] offset0:4 offset1:5
	;; [unrolled: 1-line block ×5, first 2 shown]
	ds_write_b64 v68, v[84:85] offset:96
.LBB0_13:
	s_or_b64 exec, exec, s[40:41]
	v_add_f64 v[98:99], v[34:35], -v[14:15]
	v_add_f64 v[100:101], v[42:43], -v[10:11]
	v_add_f64 v[96:97], v[16:17], v[36:37]
	v_add_f64 v[86:87], v[46:47], -v[18:19]
	v_add_f64 v[90:91], v[12:13], v[44:45]
	v_add_f64 v[46:47], v[20:21], v[48:49]
	v_add_f64 v[42:43], v[54:55], -v[22:23]
	v_add_f64 v[34:35], v[24:25], v[56:57]
	v_mul_f64 v[102:103], v[98:99], s[18:19]
	v_mul_f64 v[104:105], v[98:99], s[24:25]
	;; [unrolled: 1-line block ×6, first 2 shown]
	v_add_f64 v[18:19], v[50:51], -v[26:27]
	v_mul_f64 v[88:89], v[42:43], s[22:23]
	v_fma_f64 v[0:1], v[96:97], s[0:1], v[102:103]
	v_fma_f64 v[4:5], v[96:97], s[6:7], v[104:105]
	;; [unrolled: 1-line block ×4, first 2 shown]
	v_mul_f64 v[54:55], v[42:43], s[30:31]
	v_fma_f64 v[22:23], v[46:47], s[14:15], v[94:95]
	v_fma_f64 v[26:27], v[46:47], s[16:17], v[92:93]
	v_add_f64 v[14:15], v[28:29], v[52:53]
	v_add_f64 v[0:1], v[8:9], v[0:1]
	;; [unrolled: 1-line block ×3, first 2 shown]
	v_lshl_add_u32 v81, v80, 3, 0
	v_add_u32_e32 v110, 0x800, v81
	v_fma_f64 v[50:51], v[34:35], s[20:21], v[54:55]
	v_add_u32_e32 v112, 0x1e00, v81
	v_add_u32_e32 v113, 0x2800, v81
	s_waitcnt lgkmcnt(0)
	v_add_f64 v[0:1], v[6:7], v[0:1]
	v_add_f64 v[4:5], v[10:11], v[4:5]
	v_add_f64 v[10:11], v[38:39], -v[30:31]
	v_mul_f64 v[38:39], v[18:19], s[34:35]
	v_mul_f64 v[30:31], v[18:19], s[36:37]
	v_fma_f64 v[6:7], v[34:35], s[8:9], v[88:89]
	s_barrier
	v_add_f64 v[0:1], v[22:23], v[0:1]
	v_add_f64 v[58:59], v[26:27], v[4:5]
	;; [unrolled: 1-line block ×3, first 2 shown]
	v_mul_f64 v[26:27], v[10:11], s[26:27]
	v_mul_f64 v[22:23], v[10:11], s[38:39]
	v_fma_f64 v[60:61], v[14:15], s[20:21], v[38:39]
	v_fma_f64 v[62:63], v[14:15], s[14:15], v[30:31]
	v_add_u32_e32 v111, 0x1400, v81
	v_add_f64 v[0:1], v[6:7], v[0:1]
	v_add_f64 v[6:7], v[50:51], v[58:59]
	v_fma_f64 v[50:51], v[4:5], s[16:17], v[26:27]
	v_fma_f64 v[64:65], v[4:5], s[0:1], v[22:23]
	v_add_f64 v[0:1], v[60:61], v[0:1]
	v_add_f64 v[6:7], v[62:63], v[6:7]
	ds_read2_b64 v[58:61], v81 offset1:169
	ds_read2_b64 v[74:77], v110 offset0:82 offset1:251
	ds_read2_b64 v[70:73], v111 offset0:36 offset1:205
	;; [unrolled: 1-line block ×3, first 2 shown]
	v_add_f64 v[50:51], v[50:51], v[0:1]
	v_add_f64 v[6:7], v[64:65], v[6:7]
	ds_read2_b64 v[62:65], v113 offset0:72 offset1:241
	ds_read_b64 v[0:1], v81 offset:13520
	s_waitcnt lgkmcnt(0)
	s_barrier
	s_and_saveexec_b64 s[18:19], vcc
	s_cbranch_execz .LBB0_15
; %bb.14:
	v_add_f64 v[36:37], v[36:37], v[8:9]
	s_mov_b32 s24, 0x66966769
	s_mov_b32 s25, 0xbfefc445
	v_mul_f64 v[114:115], v[96:97], s[0:1]
	v_mul_f64 v[122:123], v[46:47], s[14:15]
	;; [unrolled: 1-line block ×5, first 2 shown]
	v_add_f64 v[36:37], v[44:45], v[36:37]
	v_mul_f64 v[44:45], v[46:47], s[16:17]
	s_mov_b32 s0, 0xebaa3ed8
	s_mov_b32 s14, 0x2ef20147
	;; [unrolled: 1-line block ×3, first 2 shown]
	v_mul_f64 v[116:117], v[96:97], s[6:7]
	s_mov_b32 s1, 0x3fbedb7d
	s_mov_b32 s15, 0xbfedeba7
	v_add_f64 v[36:37], v[48:49], v[36:37]
	v_mul_f64 v[48:49], v[98:99], s[24:25]
	s_mov_b32 s17, 0xbfe5384d
	s_mov_b32 s27, 0xbfcea1e5
	;; [unrolled: 1-line block ×3, first 2 shown]
	v_mul_f64 v[118:119], v[90:91], s[6:7]
	v_mul_f64 v[120:121], v[90:91], s[8:9]
	v_mul_f64 v[124:125], v[34:35], s[8:9]
	v_add_f64 v[36:37], v[56:57], v[36:37]
	v_mul_f64 v[56:57], v[98:99], s[26:27]
	s_mov_b32 s6, 0xb2365da1
	s_mov_b32 s8, 0xd0032e0c
	;; [unrolled: 1-line block ×4, first 2 shown]
	v_mul_f64 v[126:127], v[34:35], s[20:21]
	v_mul_f64 v[128:129], v[14:15], s[20:21]
	v_add_f64 v[36:37], v[52:53], v[36:37]
	v_mul_f64 v[52:53], v[98:99], s[16:17]
	s_mov_b32 s7, 0xbfd6b1d8
	s_mov_b32 s9, 0xbfe7f3cc
	;; [unrolled: 1-line block ×6, first 2 shown]
	v_add_f64 v[36:37], v[40:41], v[36:37]
	v_mul_f64 v[40:41], v[98:99], s[14:15]
	v_mul_f64 v[98:99], v[100:101], s[26:27]
	s_mov_b32 s34, s16
	s_mov_b32 s20, s24
	v_add_f64 v[104:105], v[116:117], -v[104:105]
	v_mul_f64 v[136:137], v[100:101], s[30:31]
	v_add_f64 v[102:103], v[114:115], -v[102:103]
	v_add_f64 v[32:33], v[32:33], v[36:37]
	v_mul_f64 v[36:37], v[100:101], s[34:35]
	v_mul_f64 v[100:101], v[100:101], s[20:21]
	v_add_f64 v[106:107], v[118:119], -v[106:107]
	v_fma_f64 v[114:115], v[96:97], s[0:1], -v[48:49]
	v_fma_f64 v[116:117], v[96:97], s[8:9], -v[52:53]
	v_fma_f64 v[52:53], v[96:97], s[8:9], v[52:53]
	v_fma_f64 v[118:119], v[96:97], s[22:23], -v[56:57]
	v_add_f64 v[28:29], v[28:29], v[32:33]
	v_fma_f64 v[32:33], v[96:97], s[0:1], v[48:49]
	v_fma_f64 v[48:49], v[96:97], s[6:7], -v[40:41]
	v_fma_f64 v[40:41], v[96:97], s[6:7], v[40:41]
	v_fma_f64 v[56:57], v[96:97], s[22:23], v[56:57]
	v_fma_f64 v[96:97], v[90:91], s[22:23], v[98:99]
	s_mov_b32 s28, 0xe00740e9
	s_mov_b32 s29, 0x3fec55a7
	v_add_f64 v[24:25], v[24:25], v[28:29]
	v_add_f64 v[32:33], v[8:9], v[32:33]
	v_add_f64 v[108:109], v[120:121], -v[108:109]
	s_mov_b32 s35, 0x3fedeba7
	s_mov_b32 s34, s14
	v_fma_f64 v[28:29], v[90:91], s[22:23], -v[98:99]
	v_fma_f64 v[98:99], v[90:91], s[8:9], -v[36:37]
	v_fma_f64 v[36:37], v[90:91], s[8:9], v[36:37]
	v_add_f64 v[20:21], v[20:21], v[24:25]
	v_add_f64 v[24:25], v[8:9], v[104:105]
	v_fma_f64 v[120:121], v[90:91], s[0:1], -v[100:101]
	v_fma_f64 v[100:101], v[90:91], s[0:1], v[100:101]
	v_add_f64 v[102:103], v[8:9], v[102:103]
	v_add_f64 v[104:105], v[8:9], v[114:115]
	;; [unrolled: 1-line block ×10, first 2 shown]
	v_mul_f64 v[96:97], v[86:87], s[34:35]
	v_add_f64 v[24:25], v[108:109], v[24:25]
	v_add_f64 v[12:13], v[16:17], v[12:13]
	v_fma_f64 v[16:17], v[90:91], s[28:29], -v[136:137]
	v_fma_f64 v[90:91], v[90:91], s[28:29], v[136:137]
	v_add_f64 v[44:45], v[44:45], -v[92:93]
	v_add_f64 v[28:29], v[28:29], v[104:105]
	s_mov_b32 s36, 0x42a4c3d2
	s_mov_b32 s37, 0xbfea55e2
	v_fma_f64 v[92:93], v[46:47], s[6:7], v[96:97]
	v_add_f64 v[56:57], v[106:107], v[102:103]
	v_add_f64 v[16:17], v[16:17], v[20:21]
	;; [unrolled: 1-line block ×3, first 2 shown]
	v_fma_f64 v[20:21], v[46:47], s[6:7], -v[96:97]
	v_mul_f64 v[90:91], v[86:87], s[30:31]
	v_add_f64 v[24:25], v[44:45], v[24:25]
	v_mul_f64 v[44:45], v[86:87], s[36:37]
	v_add_f64 v[48:49], v[98:99], v[48:49]
	v_add_f64 v[94:95], v[122:123], -v[94:95]
	s_mov_b32 s34, 0x1ea71119
	s_mov_b32 s35, 0x3fe22d96
	v_add_f64 v[20:21], v[20:21], v[28:29]
	v_mul_f64 v[28:29], v[86:87], s[16:17]
	v_fma_f64 v[86:87], v[46:47], s[28:29], -v[90:91]
	v_add_f64 v[52:53], v[100:101], v[52:53]
	v_add_f64 v[32:33], v[92:93], v[32:33]
	v_fma_f64 v[92:93], v[46:47], s[34:35], -v[44:45]
	v_fma_f64 v[44:45], v[46:47], s[34:35], v[44:45]
	v_add_f64 v[56:57], v[94:95], v[56:57]
	v_fma_f64 v[90:91], v[46:47], s[28:29], v[90:91]
	v_fma_f64 v[94:95], v[46:47], s[8:9], -v[28:29]
	v_add_f64 v[48:49], v[86:87], v[48:49]
	v_fma_f64 v[28:29], v[46:47], s[8:9], v[28:29]
	v_add_f64 v[46:47], v[124:125], -v[88:89]
	v_mul_f64 v[86:87], v[42:43], s[30:31]
	v_add_f64 v[44:45], v[44:45], v[52:53]
	v_mul_f64 v[52:53], v[42:43], s[24:25]
	s_mov_b32 s27, 0x3fcea1e5
	s_mov_b32 s25, 0x3fea55e2
	s_mov_b32 s24, s36
	v_add_f64 v[36:37], v[36:37], v[40:41]
	v_add_f64 v[8:9], v[28:29], v[8:9]
	;; [unrolled: 1-line block ×3, first 2 shown]
	v_add_f64 v[46:47], v[126:127], -v[54:55]
	v_fma_f64 v[54:55], v[34:35], s[28:29], -v[86:87]
	v_fma_f64 v[56:57], v[34:35], s[28:29], v[86:87]
	v_mul_f64 v[86:87], v[42:43], s[26:27]
	v_mul_f64 v[42:43], v[42:43], s[24:25]
	v_add_f64 v[36:37], v[90:91], v[36:37]
	v_fma_f64 v[88:89], v[34:35], s[0:1], -v[52:53]
	v_add_f64 v[38:39], v[128:129], -v[38:39]
	v_add_f64 v[24:25], v[46:47], v[24:25]
	v_fma_f64 v[46:47], v[34:35], s[0:1], v[52:53]
	v_add_f64 v[20:21], v[54:55], v[20:21]
	v_fma_f64 v[52:53], v[34:35], s[22:23], -v[86:87]
	v_add_f64 v[32:33], v[56:57], v[32:33]
	v_fma_f64 v[54:55], v[34:35], s[22:23], v[86:87]
	v_fma_f64 v[56:57], v[34:35], s[34:35], -v[42:43]
	v_fma_f64 v[34:35], v[34:35], s[34:35], v[42:43]
	v_mul_f64 v[42:43], v[18:19], s[36:37]
	v_add_f64 v[40:41], v[120:121], v[114:115]
	v_add_f64 v[16:17], v[94:95], v[16:17]
	;; [unrolled: 1-line block ×3, first 2 shown]
	v_mul_f64 v[46:47], v[18:19], s[26:27]
	v_add_f64 v[28:29], v[38:39], v[28:29]
	v_add_f64 v[30:31], v[130:131], -v[30:31]
	v_add_f64 v[8:9], v[34:35], v[8:9]
	v_mul_f64 v[34:35], v[18:19], s[30:31]
	v_fma_f64 v[38:39], v[14:15], s[34:35], -v[42:43]
	v_mul_f64 v[18:19], v[18:19], s[14:15]
	v_add_f64 v[40:41], v[92:93], v[40:41]
	v_add_f64 v[16:17], v[56:57], v[16:17]
	v_fma_f64 v[42:43], v[14:15], s[34:35], v[42:43]
	v_add_f64 v[44:45], v[54:55], v[44:45]
	v_add_f64 v[24:25], v[30:31], v[24:25]
	v_fma_f64 v[54:55], v[14:15], s[28:29], -v[34:35]
	v_add_f64 v[20:21], v[38:39], v[20:21]
	v_fma_f64 v[38:39], v[14:15], s[6:7], -v[18:19]
	;; [unrolled: 2-line block ×3, first 2 shown]
	v_fma_f64 v[46:47], v[14:15], s[22:23], v[46:47]
	v_fma_f64 v[34:35], v[14:15], s[28:29], v[34:35]
	v_fma_f64 v[14:15], v[14:15], s[6:7], v[18:19]
	v_add_f64 v[18:19], v[132:133], -v[26:27]
	v_add_f64 v[22:23], v[134:135], -v[22:23]
	v_mul_f64 v[26:27], v[10:11], s[16:17]
	v_add_f64 v[48:49], v[88:89], v[48:49]
	v_add_f64 v[30:31], v[42:43], v[32:33]
	v_mul_f64 v[42:43], v[10:11], s[24:25]
	v_add_f64 v[16:17], v[38:39], v[16:17]
	v_mul_f64 v[38:39], v[10:11], s[14:15]
	v_mul_f64 v[10:11], v[10:11], s[20:21]
	v_add_f64 v[8:9], v[14:15], v[8:9]
	v_add_f64 v[14:15], v[18:19], v[28:29]
	;; [unrolled: 1-line block ×3, first 2 shown]
	v_fma_f64 v[22:23], v[4:5], s[8:9], -v[26:27]
	v_add_f64 v[32:33], v[52:53], v[48:49]
	v_add_f64 v[40:41], v[54:55], v[40:41]
	v_fma_f64 v[24:25], v[4:5], s[34:35], -v[42:43]
	v_fma_f64 v[28:29], v[4:5], s[34:35], v[42:43]
	v_fma_f64 v[42:43], v[4:5], s[6:7], -v[38:39]
	v_add_f64 v[34:35], v[34:35], v[44:45]
	v_fma_f64 v[44:45], v[4:5], s[0:1], -v[10:11]
	v_fma_f64 v[10:11], v[4:5], s[0:1], v[10:11]
	v_add_f64 v[36:37], v[46:47], v[36:37]
	v_fma_f64 v[38:39], v[4:5], s[6:7], v[38:39]
	v_fma_f64 v[4:5], v[4:5], s[8:9], v[26:27]
	v_add_f64 v[20:21], v[22:23], v[20:21]
	v_add_f64 v[22:23], v[24:25], v[32:33]
	;; [unrolled: 1-line block ×8, first 2 shown]
	s_movk_i32 s0, 0x60
	v_mad_u32_u24 v28, v80, s0, v81
	ds_write2_b64 v28, v[12:13], v[14:15] offset1:1
	ds_write2_b64 v28, v[18:19], v[20:21] offset0:2 offset1:3
	ds_write2_b64 v28, v[22:23], v[26:27] offset0:4 offset1:5
	;; [unrolled: 1-line block ×5, first 2 shown]
	ds_write_b64 v28, v[50:51] offset:96
.LBB0_15:
	s_or_b64 exec, exec, s[18:19]
	s_load_dwordx2 s[0:1], s[4:5], 0x0
	s_movk_i32 s4, 0x4f
	v_mul_lo_u16_sdwa v4, v80, s4 dst_sel:DWORD dst_unused:UNUSED_PAD src0_sel:BYTE_0 src1_sel:DWORD
	v_lshrrev_b16_e32 v90, 10, v4
	v_mul_lo_u16_e32 v4, 13, v90
	v_sub_u16_e32 v91, v80, v4
	v_mov_b32_e32 v4, 10
	v_mul_u32_u24_sdwa v4, v91, v4 dst_sel:DWORD dst_unused:UNUSED_PAD src0_sel:BYTE_0 src1_sel:DWORD
	v_lshlrev_b32_e32 v4, 4, v4
	s_waitcnt lgkmcnt(0)
	s_barrier
	global_load_dwordx4 v[8:11], v4, s[12:13]
	global_load_dwordx4 v[16:19], v4, s[12:13] offset:16
	global_load_dwordx4 v[20:23], v4, s[12:13] offset:32
	;; [unrolled: 1-line block ×9, first 2 shown]
	ds_read2_b64 v[12:15], v81 offset1:169
	ds_read2_b64 v[38:41], v110 offset0:82 offset1:251
	ds_read2_b64 v[100:103], v111 offset0:36 offset1:205
	;; [unrolled: 1-line block ×4, first 2 shown]
	ds_read_b64 v[112:113], v81 offset:13520
	s_mov_b32 s4, 0xf8bb580b
	s_mov_b32 s6, 0x8eee2c13
	;; [unrolled: 1-line block ×28, first 2 shown]
	s_waitcnt vmcnt(0) lgkmcnt(0)
	s_barrier
	v_mul_f64 v[4:5], v[14:15], v[10:11]
	v_mul_f64 v[10:11], v[60:61], v[10:11]
	;; [unrolled: 1-line block ×8, first 2 shown]
	v_fma_f64 v[86:87], v[60:61], v[8:9], v[4:5]
	v_mul_f64 v[130:131], v[112:113], v[98:99]
	v_mul_f64 v[124:125], v[68:69], v[44:45]
	;; [unrolled: 1-line block ×3, first 2 shown]
	v_fma_f64 v[88:89], v[14:15], v[8:9], -v[10:11]
	v_fma_f64 v[74:75], v[74:75], v[16:17], v[32:33]
	v_fma_f64 v[14:15], v[66:67], v[34:35], v[118:119]
	v_mul_f64 v[114:115], v[100:101], v[26:27]
	v_fma_f64 v[56:57], v[76:77], v[20:21], v[52:53]
	v_fma_f64 v[66:67], v[0:1], v[96:97], v[130:131]
	v_add_f64 v[0:1], v[58:59], v[86:87]
	v_mul_f64 v[116:117], v[102:103], v[30:31]
	v_mul_f64 v[128:129], v[110:111], v[48:49]
	v_mul_f64 v[48:49], v[64:65], v[48:49]
	v_fma_f64 v[44:45], v[112:113], v[96:97], -v[44:45]
	v_fma_f64 v[36:37], v[70:71], v[24:25], v[114:115]
	v_mul_f64 v[22:23], v[76:77], v[22:23]
	v_mul_f64 v[26:27], v[70:71], v[26:27]
	v_add_f64 v[0:1], v[0:1], v[74:75]
	v_fma_f64 v[4:5], v[72:73], v[28:29], v[116:117]
	v_mul_f64 v[30:31], v[72:73], v[30:31]
	v_mul_f64 v[126:127], v[108:109], v[94:95]
	;; [unrolled: 1-line block ×3, first 2 shown]
	v_fma_f64 v[54:55], v[38:39], v[16:17], -v[18:19]
	v_fma_f64 v[64:65], v[64:65], v[46:47], v[128:129]
	v_fma_f64 v[46:47], v[110:111], v[46:47], -v[48:49]
	v_add_f64 v[0:1], v[0:1], v[56:57]
	v_add_f64 v[8:9], v[88:89], -v[44:45]
	v_fma_f64 v[52:53], v[40:41], v[20:21], -v[22:23]
	v_fma_f64 v[40:41], v[100:101], v[24:25], -v[26:27]
	;; [unrolled: 1-line block ×3, first 2 shown]
	v_fma_f64 v[38:39], v[68:69], v[42:43], v[122:123]
	v_fma_f64 v[48:49], v[108:109], v[92:93], -v[94:95]
	v_add_f64 v[10:11], v[86:87], v[66:67]
	v_add_f64 v[0:1], v[0:1], v[36:37]
	v_add_f64 v[18:19], v[54:55], -v[46:47]
	v_mul_f64 v[26:27], v[8:9], s[4:5]
	v_mul_f64 v[28:29], v[8:9], s[6:7]
	v_fma_f64 v[60:61], v[62:63], v[92:93], v[126:127]
	v_add_f64 v[16:17], v[74:75], v[64:65]
	v_add_f64 v[22:23], v[52:53], -v[48:49]
	v_mul_f64 v[30:31], v[8:9], s[8:9]
	v_add_f64 v[0:1], v[0:1], v[4:5]
	v_mul_f64 v[62:63], v[8:9], s[18:19]
	v_mul_f64 v[8:9], v[8:9], s[24:25]
	;; [unrolled: 1-line block ×4, first 2 shown]
	v_fma_f64 v[100:101], v[10:11], s[14:15], v[26:27]
	v_fma_f64 v[26:27], v[10:11], s[14:15], -v[26:27]
	v_fma_f64 v[102:103], v[10:11], s[16:17], v[28:29]
	v_add_f64 v[0:1], v[0:1], v[14:15]
	v_fma_f64 v[34:35], v[104:105], v[34:35], -v[120:121]
	v_fma_f64 v[42:43], v[106:107], v[42:43], -v[124:125]
	v_add_f64 v[20:21], v[56:57], v[60:61]
	v_mul_f64 v[72:73], v[18:19], s[34:35]
	v_mul_f64 v[76:77], v[18:19], s[26:27]
	;; [unrolled: 1-line block ×4, first 2 shown]
	v_add_f64 v[0:1], v[0:1], v[38:39]
	v_mul_f64 v[94:95], v[22:23], s[34:35]
	v_fma_f64 v[28:29], v[10:11], s[16:17], -v[28:29]
	v_fma_f64 v[104:105], v[10:11], s[20:21], v[30:31]
	v_fma_f64 v[30:31], v[10:11], s[20:21], -v[30:31]
	v_fma_f64 v[106:107], v[10:11], s[22:23], v[62:63]
	v_fma_f64 v[62:63], v[10:11], s[22:23], -v[62:63]
	v_fma_f64 v[108:109], v[10:11], s[28:29], v[8:9]
	v_fma_f64 v[8:9], v[10:11], s[28:29], -v[8:9]
	v_fma_f64 v[10:11], v[16:17], s[16:17], v[68:69]
	v_fma_f64 v[68:69], v[16:17], s[16:17], -v[68:69]
	v_fma_f64 v[110:111], v[16:17], s[22:23], v[70:71]
	v_add_f64 v[100:101], v[58:59], v[100:101]
	v_add_f64 v[26:27], v[58:59], v[26:27]
	;; [unrolled: 1-line block ×4, first 2 shown]
	v_add_f64 v[24:25], v[40:41], -v[42:43]
	v_mul_f64 v[96:97], v[22:23], s[36:37]
	v_mul_f64 v[98:99], v[22:23], s[4:5]
	v_fma_f64 v[70:71], v[16:17], s[22:23], -v[70:71]
	v_fma_f64 v[112:113], v[16:17], s[28:29], v[72:73]
	v_fma_f64 v[72:73], v[16:17], s[28:29], -v[72:73]
	v_fma_f64 v[114:115], v[16:17], s[20:21], v[76:77]
	;; [unrolled: 2-line block ×5, first 2 shown]
	v_add_f64 v[28:29], v[58:59], v[28:29]
	v_add_f64 v[104:105], v[58:59], v[104:105]
	;; [unrolled: 1-line block ×11, first 2 shown]
	v_fma_f64 v[94:95], v[20:21], s[28:29], -v[94:95]
	v_add_f64 v[28:29], v[70:71], v[28:29]
	v_add_f64 v[30:31], v[72:73], v[30:31]
	;; [unrolled: 1-line block ×9, first 2 shown]
	v_mul_f64 v[0:1], v[22:23], s[18:19]
	v_fma_f64 v[22:23], v[20:21], s[16:17], -v[96:97]
	v_add_f64 v[58:59], v[36:37], v[38:39]
	v_mul_f64 v[76:77], v[24:25], s[18:19]
	v_fma_f64 v[92:93], v[20:21], s[14:15], v[98:99]
	v_fma_f64 v[120:121], v[20:21], s[16:17], v[96:97]
	v_add_f64 v[28:29], v[94:95], v[28:29]
	v_fma_f64 v[94:95], v[20:21], s[14:15], -v[98:99]
	v_mul_f64 v[96:97], v[24:25], s[26:27]
	v_fma_f64 v[98:99], v[20:21], s[22:23], v[0:1]
	v_add_f64 v[22:23], v[22:23], v[30:31]
	v_fma_f64 v[0:1], v[20:21], s[22:23], -v[0:1]
	v_fma_f64 v[20:21], v[58:59], s[22:23], v[76:77]
	v_add_f64 v[30:31], v[92:93], v[70:71]
	v_fma_f64 v[70:71], v[58:59], s[22:23], -v[76:77]
	v_add_f64 v[68:69], v[112:113], v[104:105]
	v_add_f64 v[72:73], v[116:117], v[108:109]
	v_fma_f64 v[76:77], v[58:59], s[20:21], v[96:97]
	v_mul_f64 v[92:93], v[24:25], s[4:5]
	v_add_f64 v[0:1], v[0:1], v[16:17]
	v_add_f64 v[10:11], v[20:21], v[10:11]
	v_mul_f64 v[16:17], v[24:25], s[24:25]
	v_add_f64 v[18:19], v[70:71], v[18:19]
	v_add_f64 v[20:21], v[32:33], -v[34:35]
	v_fma_f64 v[70:71], v[58:59], s[20:21], -v[96:97]
	v_mul_f64 v[24:25], v[24:25], s[36:37]
	v_add_f64 v[68:69], v[120:121], v[68:69]
	v_add_f64 v[62:63], v[94:95], v[62:63]
	;; [unrolled: 1-line block ×4, first 2 shown]
	v_fma_f64 v[76:77], v[58:59], s[14:15], v[92:93]
	v_fma_f64 v[92:93], v[58:59], s[14:15], -v[92:93]
	v_fma_f64 v[94:95], v[58:59], s[28:29], v[16:17]
	v_add_f64 v[96:97], v[4:5], v[14:15]
	v_mul_f64 v[98:99], v[20:21], s[24:25]
	v_fma_f64 v[16:17], v[58:59], s[28:29], -v[16:17]
	v_add_f64 v[28:29], v[70:71], v[28:29]
	v_fma_f64 v[70:71], v[58:59], s[16:17], v[24:25]
	v_fma_f64 v[24:25], v[58:59], s[16:17], -v[24:25]
	v_add_f64 v[68:69], v[76:77], v[68:69]
	v_add_f64 v[22:23], v[92:93], v[22:23]
	v_mul_f64 v[76:77], v[20:21], s[30:31]
	v_fma_f64 v[58:59], v[96:97], s[28:29], v[98:99]
	v_add_f64 v[62:63], v[16:17], v[62:63]
	v_fma_f64 v[16:17], v[96:97], s[28:29], -v[98:99]
	v_add_f64 v[70:71], v[70:71], v[72:73]
	v_mul_f64 v[72:73], v[20:21], s[18:19]
	v_add_f64 v[92:93], v[24:25], v[0:1]
	v_mul_f64 v[24:25], v[20:21], s[36:37]
	v_mul_f64 v[20:21], v[20:21], s[8:9]
	v_add_f64 v[30:31], v[94:95], v[30:31]
	v_add_f64 v[10:11], v[58:59], v[10:11]
	v_add_f64 v[0:1], v[16:17], v[18:19]
	v_fma_f64 v[16:17], v[96:97], s[14:15], v[76:77]
	v_fma_f64 v[18:19], v[96:97], s[14:15], -v[76:77]
	v_fma_f64 v[58:59], v[96:97], s[22:23], v[72:73]
	v_fma_f64 v[72:73], v[96:97], s[22:23], -v[72:73]
	;; [unrolled: 2-line block ×4, first 2 shown]
	v_add_f64 v[16:17], v[16:17], v[26:27]
	v_add_f64 v[26:27], v[18:19], v[28:29]
	;; [unrolled: 1-line block ×8, first 2 shown]
	v_mov_b32_e32 v59, 3
	v_mul_u32_u24_e32 v58, 0x478, v90
	v_lshlrev_b32_sdwa v59, v59, v91 dst_sel:DWORD dst_unused:UNUSED_PAD src0_sel:DWORD src1_sel:BYTE_0
	v_add3_u32 v58, 0, v58, v59
	ds_write2_b64 v58, v[8:9], v[10:11] offset1:13
	ds_write2_b64 v58, v[16:17], v[18:19] offset0:26 offset1:39
	ds_write2_b64 v58, v[20:21], v[22:23] offset0:52 offset1:65
	;; [unrolled: 1-line block ×4, first 2 shown]
	ds_write_b64 v58, v[0:1] offset:1040
	s_waitcnt lgkmcnt(0)
	s_barrier
	s_and_saveexec_b64 s[38:39], vcc
	s_cbranch_execz .LBB0_17
; %bb.16:
	v_add_u32_e32 v0, 0x800, v81
	ds_read2_b64 v[16:19], v0 offset0:30 offset1:173
	v_add_u32_e32 v0, 0x1000, v81
	ds_read2_b64 v[20:23], v0 offset0:60 offset1:203
	;; [unrolled: 2-line block ×4, first 2 shown]
	v_add_u32_e32 v0, 0x2c00, v81
	ds_read2_b64 v[8:11], v81 offset1:143
	ds_read2_b64 v[0:3], v0 offset0:22 offset1:165
	ds_read_b64 v[84:85], v81 offset:13728
.LBB0_17:
	s_or_b64 exec, exec, s[38:39]
	v_add_f64 v[62:63], v[12:13], v[88:89]
	v_add_f64 v[70:71], v[54:55], v[46:47]
	;; [unrolled: 1-line block ×4, first 2 shown]
	v_add_f64 v[66:67], v[86:87], -v[66:67]
	v_add_f64 v[64:65], v[74:75], -v[64:65]
	;; [unrolled: 1-line block ×3, first 2 shown]
	s_mov_b32 s39, 0x3fe82f19
	v_add_f64 v[54:55], v[62:63], v[54:55]
	s_mov_b32 s38, s18
	v_mul_f64 v[86:87], v[70:71], s[16:17]
	v_mul_f64 v[59:60], v[68:69], s[14:15]
	v_mul_f64 v[61:62], v[68:69], s[16:17]
	v_mul_f64 v[74:75], v[68:69], s[20:21]
	v_mul_f64 v[76:77], v[68:69], s[22:23]
	v_mul_f64 v[68:69], v[68:69], s[28:29]
	v_add_f64 v[52:53], v[54:55], v[52:53]
	v_mul_f64 v[54:55], v[70:71], s[22:23]
	v_mul_f64 v[88:89], v[70:71], s[28:29]
	v_mul_f64 v[90:91], v[70:71], s[20:21]
	v_mul_f64 v[70:71], v[70:71], s[14:15]
	v_fma_f64 v[98:99], v[66:67], s[30:31], v[59:60]
	v_fma_f64 v[59:60], v[66:67], s[4:5], v[59:60]
	;; [unrolled: 1-line block ×3, first 2 shown]
	v_add_f64 v[52:53], v[52:53], v[40:41]
	v_fma_f64 v[61:62], v[66:67], s[6:7], v[61:62]
	v_fma_f64 v[102:103], v[66:67], s[26:27], v[74:75]
	;; [unrolled: 1-line block ×7, first 2 shown]
	v_add_f64 v[52:53], v[52:53], v[32:33]
	v_mul_f64 v[92:93], v[72:73], s[20:21]
	v_mul_f64 v[94:95], v[72:73], s[28:29]
	v_fma_f64 v[68:69], v[64:65], s[36:37], v[86:87]
	v_fma_f64 v[86:87], v[64:65], s[6:7], v[86:87]
	;; [unrolled: 1-line block ×5, first 2 shown]
	v_add_f64 v[52:53], v[52:53], v[34:35]
	v_fma_f64 v[88:89], v[64:65], s[34:35], v[88:89]
	v_fma_f64 v[112:113], v[64:65], s[8:9], v[90:91]
	;; [unrolled: 1-line block ×5, first 2 shown]
	v_add_f64 v[98:99], v[12:13], v[98:99]
	v_add_f64 v[59:60], v[12:13], v[59:60]
	v_add_f64 v[52:53], v[52:53], v[42:43]
	v_add_f64 v[100:101], v[12:13], v[100:101]
	v_add_f64 v[61:62], v[12:13], v[61:62]
	v_add_f64 v[102:103], v[12:13], v[102:103]
	v_add_f64 v[76:77], v[12:13], v[76:77]
	v_add_f64 v[65:66], v[12:13], v[66:67]
	v_mul_f64 v[96:97], v[72:73], s[16:17]
	v_fma_f64 v[70:71], v[56:57], s[26:27], v[92:93]
	v_add_f64 v[48:49], v[52:53], v[48:49]
	v_add_f64 v[52:53], v[12:13], v[74:75]
	;; [unrolled: 1-line block ×7, first 2 shown]
	v_mul_f64 v[42:43], v[72:73], s[14:15]
	v_add_f64 v[12:13], v[48:49], v[46:47]
	v_add_f64 v[48:49], v[54:55], v[61:62]
	;; [unrolled: 1-line block ×3, first 2 shown]
	v_fma_f64 v[92:93], v[56:57], s[8:9], v[92:93]
	v_add_f64 v[65:66], v[70:71], v[67:68]
	v_fma_f64 v[67:68], v[56:57], s[6:7], v[96:97]
	v_fma_f64 v[116:117], v[56:57], s[24:25], v[94:95]
	v_add_f64 v[59:60], v[86:87], v[59:60]
	v_add_f64 v[12:13], v[12:13], v[44:45]
	v_fma_f64 v[44:45], v[56:57], s[34:35], v[94:95]
	v_add_f64 v[46:47], v[108:109], v[100:101]
	v_add_f64 v[52:53], v[88:89], v[52:53]
	;; [unrolled: 1-line block ×4, first 2 shown]
	v_fma_f64 v[69:70], v[56:57], s[36:37], v[96:97]
	v_add_f64 v[36:37], v[36:37], -v[38:39]
	v_mul_f64 v[38:39], v[40:41], s[22:23]
	v_add_f64 v[44:45], v[44:45], v[48:49]
	v_mul_f64 v[48:49], v[72:73], s[22:23]
	v_fma_f64 v[71:72], v[56:57], s[30:31], v[42:43]
	v_add_f64 v[54:55], v[67:68], v[54:55]
	v_mul_f64 v[67:68], v[40:41], s[20:21]
	v_fma_f64 v[42:43], v[56:57], s[4:5], v[42:43]
	v_add_f64 v[59:60], v[92:93], v[59:60]
	v_add_f64 v[46:47], v[116:117], v[46:47]
	;; [unrolled: 1-line block ×3, first 2 shown]
	v_fma_f64 v[86:87], v[56:57], s[38:39], v[48:49]
	v_fma_f64 v[48:49], v[56:57], s[18:19], v[48:49]
	;; [unrolled: 1-line block ×5, first 2 shown]
	v_add_f64 v[42:43], v[42:43], v[74:75]
	v_mul_f64 v[73:74], v[40:41], s[14:15]
	v_add_f64 v[32:33], v[32:33], v[34:35]
	v_add_f64 v[76:77], v[114:115], v[104:105]
	v_add_f64 v[48:49], v[48:49], v[63:64]
	v_mul_f64 v[63:64], v[40:41], s[28:29]
	v_add_f64 v[56:57], v[56:57], v[65:66]
	v_add_f64 v[38:39], v[38:39], v[59:60]
	;; [unrolled: 1-line block ×3, first 2 shown]
	v_fma_f64 v[34:35], v[36:37], s[26:27], v[67:68]
	v_fma_f64 v[59:60], v[36:37], s[30:31], v[73:74]
	v_mul_f64 v[40:41], v[40:41], s[16:17]
	v_fma_f64 v[65:66], v[36:37], s[4:5], v[73:74]
	v_fma_f64 v[67:68], v[36:37], s[34:35], v[63:64]
	;; [unrolled: 1-line block ×3, first 2 shown]
	v_add_f64 v[69:70], v[4:5], -v[14:15]
	v_mul_f64 v[4:5], v[32:33], s[28:29]
	v_add_f64 v[61:62], v[71:72], v[61:62]
	v_add_f64 v[71:72], v[86:87], v[76:77]
	;; [unrolled: 1-line block ×4, first 2 shown]
	v_fma_f64 v[14:15], v[36:37], s[6:7], v[40:41]
	v_add_f64 v[52:53], v[65:66], v[52:53]
	v_fma_f64 v[36:37], v[36:37], s[36:37], v[40:41]
	v_add_f64 v[40:41], v[63:64], v[42:43]
	v_fma_f64 v[42:43], v[69:70], s[34:35], v[4:5]
	v_fma_f64 v[4:5], v[69:70], s[24:25], v[4:5]
	v_mul_f64 v[59:60], v[32:33], s[14:15]
	v_mul_f64 v[63:64], v[32:33], s[22:23]
	;; [unrolled: 1-line block ×4, first 2 shown]
	v_add_f64 v[54:55], v[67:68], v[61:62]
	v_add_f64 v[61:62], v[14:15], v[71:72]
	;; [unrolled: 1-line block ×5, first 2 shown]
	v_fma_f64 v[36:37], v[69:70], s[4:5], v[59:60]
	v_fma_f64 v[38:39], v[69:70], s[30:31], v[59:60]
	;; [unrolled: 1-line block ×8, first 2 shown]
	v_add_f64 v[32:33], v[36:37], v[46:47]
	v_add_f64 v[42:43], v[38:39], v[34:35]
	;; [unrolled: 1-line block ×8, first 2 shown]
	s_waitcnt lgkmcnt(0)
	s_barrier
	ds_write2_b64 v58, v[12:13], v[14:15] offset1:13
	ds_write2_b64 v58, v[32:33], v[34:35] offset0:26 offset1:39
	ds_write2_b64 v58, v[36:37], v[38:39] offset0:52 offset1:65
	ds_write2_b64 v58, v[44:45], v[46:47] offset0:78 offset1:91
	ds_write2_b64 v58, v[40:41], v[42:43] offset0:104 offset1:117
	ds_write_b64 v58, v[4:5] offset:1040
	s_waitcnt lgkmcnt(0)
	s_barrier
	s_and_saveexec_b64 s[4:5], vcc
	s_cbranch_execnz .LBB0_20
; %bb.18:
	s_or_b64 exec, exec, s[4:5]
	s_and_saveexec_b64 s[4:5], s[2:3]
	s_cbranch_execnz .LBB0_21
.LBB0_19:
	s_endpgm
.LBB0_20:
	v_add_u32_e32 v4, 0x800, v81
	ds_read2_b64 v[32:35], v4 offset0:30 offset1:173
	v_add_u32_e32 v4, 0x1000, v81
	ds_read2_b64 v[36:39], v4 offset0:60 offset1:203
	;; [unrolled: 2-line block ×4, first 2 shown]
	v_add_u32_e32 v4, 0x2c00, v81
	ds_read2_b64 v[12:15], v81 offset1:143
	ds_read2_b64 v[4:7], v4 offset0:22 offset1:165
	ds_read_b64 v[50:51], v81 offset:13728
	s_or_b64 exec, exec, s[4:5]
	s_and_saveexec_b64 s[4:5], s[2:3]
	s_cbranch_execz .LBB0_19
.LBB0_21:
	v_mul_u32_u24_e32 v48, 12, v80
	v_lshlrev_b32_e32 v48, 4, v48
	global_load_dwordx4 v[56:59], v48, s[12:13] offset:2160
	global_load_dwordx4 v[60:63], v48, s[12:13] offset:2176
	global_load_dwordx4 v[64:67], v48, s[12:13] offset:2144
	global_load_dwordx4 v[68:71], v48, s[12:13] offset:2192
	global_load_dwordx4 v[72:75], v48, s[12:13] offset:2128
	global_load_dwordx4 v[86:89], v48, s[12:13] offset:2208
	global_load_dwordx4 v[90:93], v48, s[12:13] offset:2112
	global_load_dwordx4 v[94:97], v48, s[12:13] offset:2224
	global_load_dwordx4 v[98:101], v48, s[12:13] offset:2096
	global_load_dwordx4 v[102:105], v48, s[12:13] offset:2240
	global_load_dwordx4 v[106:109], v48, s[12:13] offset:2080
	global_load_dwordx4 v[110:113], v48, s[12:13] offset:2256
	v_mul_lo_u32 v136, s1, v82
	v_mul_lo_u32 v137, s0, v83
	v_mad_u64_u32 v[48:49], s[0:1], s0, v82, 0
	s_mov_b32 s20, 0x4bc48dbf
	s_mov_b32 s21, 0xbfcea1e5
	;; [unrolled: 1-line block ×26, first 2 shown]
	v_add3_u32 v49, v49, v137, v136
	s_mov_b32 s35, 0x3fcea1e5
	s_mov_b32 s34, s20
	;; [unrolled: 1-line block ×6, first 2 shown]
	s_waitcnt vmcnt(11) lgkmcnt(4)
	v_mul_f64 v[52:53], v[44:45], v[58:59]
	s_waitcnt vmcnt(10)
	v_mul_f64 v[76:77], v[46:47], v[62:63]
	v_mul_f64 v[58:59], v[28:29], v[58:59]
	;; [unrolled: 1-line block ×3, first 2 shown]
	s_waitcnt vmcnt(9)
	v_mul_f64 v[81:82], v[38:39], v[66:67]
	s_waitcnt vmcnt(8) lgkmcnt(3)
	v_mul_f64 v[114:115], v[40:41], v[70:71]
	v_mul_f64 v[66:67], v[22:23], v[66:67]
	;; [unrolled: 1-line block ×3, first 2 shown]
	s_waitcnt vmcnt(7)
	v_mul_f64 v[116:117], v[36:37], v[74:75]
	s_waitcnt vmcnt(6)
	v_mul_f64 v[118:119], v[42:43], v[88:89]
	v_mul_f64 v[74:75], v[20:21], v[74:75]
	;; [unrolled: 1-line block ×3, first 2 shown]
	s_waitcnt vmcnt(5)
	v_mul_f64 v[120:121], v[34:35], v[92:93]
	v_mul_f64 v[92:93], v[18:19], v[92:93]
	s_waitcnt vmcnt(3)
	v_mul_f64 v[124:125], v[32:33], v[100:101]
	v_mul_f64 v[100:101], v[16:17], v[100:101]
	s_waitcnt vmcnt(1) lgkmcnt(2)
	v_mul_f64 v[128:129], v[14:15], v[108:109]
	s_waitcnt vmcnt(0) lgkmcnt(0)
	v_mul_f64 v[130:131], v[50:51], v[112:113]
	v_mul_f64 v[108:109], v[10:11], v[108:109]
	;; [unrolled: 1-line block ×5, first 2 shown]
	v_fma_f64 v[54:55], v[28:29], v[56:57], v[52:53]
	v_fma_f64 v[52:53], v[30:31], v[60:61], v[76:77]
	v_fma_f64 v[56:57], v[44:45], v[56:57], -v[58:59]
	v_fma_f64 v[46:47], v[46:47], v[60:61], -v[62:63]
	v_fma_f64 v[58:59], v[22:23], v[64:65], v[81:82]
	v_fma_f64 v[60:61], v[38:39], v[64:65], -v[66:67]
	v_fma_f64 v[40:41], v[40:41], v[68:69], -v[70:71]
	v_fma_f64 v[62:63], v[20:21], v[72:73], v[116:117]
	v_fma_f64 v[38:39], v[26:27], v[86:87], v[118:119]
	v_fma_f64 v[66:67], v[36:37], v[72:73], -v[74:75]
	v_fma_f64 v[36:37], v[42:43], v[86:87], -v[88:89]
	v_fma_f64 v[70:71], v[18:19], v[90:91], v[120:121]
	v_fma_f64 v[72:73], v[34:35], v[90:91], -v[92:93]
	v_fma_f64 v[86:87], v[32:33], v[98:99], -v[100:101]
	v_fma_f64 v[90:91], v[10:11], v[106:107], v[128:129]
	v_fma_f64 v[10:11], v[84:85], v[110:111], v[130:131]
	v_fma_f64 v[100:101], v[14:15], v[106:107], -v[108:109]
	v_fma_f64 v[22:23], v[50:51], v[110:111], -v[112:113]
	v_mul_f64 v[122:123], v[4:5], v[96:97]
	v_mul_f64 v[96:97], v[0:1], v[96:97]
	v_fma_f64 v[44:45], v[24:25], v[68:69], v[114:115]
	v_fma_f64 v[81:82], v[16:17], v[98:99], v[124:125]
	;; [unrolled: 1-line block ×3, first 2 shown]
	v_fma_f64 v[26:27], v[6:7], v[102:103], -v[104:105]
	v_add_f64 v[120:121], v[90:91], -v[10:11]
	v_add_f64 v[112:113], v[100:101], -v[22:23]
	v_fma_f64 v[28:29], v[0:1], v[94:95], v[122:123]
	v_fma_f64 v[30:31], v[4:5], v[94:95], -v[96:97]
	v_add_f64 v[74:75], v[100:101], v[22:23]
	v_add_f64 v[106:107], v[90:91], v[10:11]
	v_add_f64 v[118:119], v[81:82], -v[24:25]
	v_add_f64 v[108:109], v[86:87], -v[26:27]
	v_mul_f64 v[0:1], v[120:121], s[20:21]
	v_mul_f64 v[4:5], v[112:113], s[20:21]
	v_add_f64 v[116:117], v[70:71], -v[28:29]
	v_add_f64 v[68:69], v[86:87], v[26:27]
	v_add_f64 v[110:111], v[72:73], -v[30:31]
	v_add_f64 v[102:103], v[81:82], v[24:25]
	v_mul_f64 v[2:3], v[118:119], s[18:19]
	v_mul_f64 v[18:19], v[108:109], s[18:19]
	v_fma_f64 v[6:7], v[74:75], s[14:15], v[0:1]
	v_fma_f64 v[114:115], v[106:107], s[14:15], -v[4:5]
	v_fma_f64 v[0:1], v[74:75], s[14:15], -v[0:1]
	v_add_f64 v[98:99], v[62:63], -v[38:39]
	v_add_f64 v[50:51], v[72:73], v[30:31]
	v_add_f64 v[104:105], v[66:67], -v[36:37]
	v_add_f64 v[94:95], v[70:71], v[28:29]
	v_mul_f64 v[16:17], v[116:117], s[12:13]
	v_fma_f64 v[20:21], v[68:69], s[16:17], v[2:3]
	v_add_f64 v[6:7], v[12:13], v[6:7]
	v_mul_f64 v[124:125], v[110:111], s[12:13]
	v_fma_f64 v[128:129], v[102:103], s[16:17], -v[18:19]
	v_fma_f64 v[2:3], v[68:69], s[16:17], -v[2:3]
	v_add_f64 v[114:115], v[8:9], v[114:115]
	v_add_f64 v[0:1], v[12:13], v[0:1]
	v_add_f64 v[88:89], v[58:59], -v[44:45]
	v_add_f64 v[42:43], v[66:67], v[36:37]
	v_add_f64 v[96:97], v[60:61], -v[40:41]
	v_add_f64 v[83:84], v[62:63], v[38:39]
	v_mul_f64 v[122:123], v[98:99], s[26:27]
	v_fma_f64 v[126:127], v[50:51], s[6:7], v[16:17]
	v_add_f64 v[6:7], v[20:21], v[6:7]
	v_mul_f64 v[130:131], v[104:105], s[26:27]
	v_fma_f64 v[134:135], v[94:95], s[6:7], -v[124:125]
	v_fma_f64 v[16:17], v[50:51], s[6:7], -v[16:17]
	v_add_f64 v[114:115], v[128:129], v[114:115]
	v_add_f64 v[0:1], v[2:3], v[0:1]
	v_add_f64 v[76:77], v[54:55], -v[52:53]
	v_add_f64 v[34:35], v[60:61], v[40:41]
	v_add_f64 v[92:93], v[56:57], -v[46:47]
	v_add_f64 v[64:65], v[58:59], v[44:45]
	v_mul_f64 v[20:21], v[88:89], s[4:5]
	v_fma_f64 v[132:133], v[42:43], s[8:9], v[122:123]
	v_add_f64 v[6:7], v[126:127], v[6:7]
	v_mul_f64 v[126:127], v[96:97], s[4:5]
	v_fma_f64 v[4:5], v[106:107], s[14:15], v[4:5]
	v_fma_f64 v[128:129], v[83:84], s[8:9], -v[130:131]
	v_fma_f64 v[122:123], v[42:43], s[8:9], -v[122:123]
	v_add_f64 v[134:135], v[134:135], v[114:115]
	v_add_f64 v[0:1], v[16:17], v[0:1]
	;; [unrolled: 1-line block ×3, first 2 shown]
	v_mul_f64 v[14:15], v[76:77], s[22:23]
	v_fma_f64 v[2:3], v[34:35], s[0:1], v[20:21]
	v_add_f64 v[6:7], v[132:133], v[6:7]
	v_add_f64 v[114:115], v[54:55], v[52:53]
	v_fma_f64 v[16:17], v[102:103], s[16:17], v[18:19]
	v_add_f64 v[4:5], v[8:9], v[4:5]
	v_mul_f64 v[18:19], v[92:93], s[22:23]
	v_fma_f64 v[132:133], v[64:65], s[0:1], -v[126:127]
	v_add_f64 v[128:129], v[128:129], v[134:135]
	v_fma_f64 v[20:21], v[34:35], s[0:1], -v[20:21]
	v_add_f64 v[0:1], v[122:123], v[0:1]
	v_fma_f64 v[122:123], v[32:33], s[2:3], v[14:15]
	v_add_f64 v[2:3], v[2:3], v[6:7]
	v_add_f64 v[4:5], v[16:17], v[4:5]
	v_fma_f64 v[6:7], v[114:115], s[2:3], -v[18:19]
	v_fma_f64 v[14:15], v[32:33], s[2:3], -v[14:15]
	v_add_f64 v[16:17], v[132:133], v[128:129]
	v_mul_f64 v[128:129], v[120:121], s[12:13]
	v_add_f64 v[20:21], v[20:21], v[0:1]
	v_fma_f64 v[124:125], v[94:95], s[6:7], v[124:125]
	v_fma_f64 v[130:131], v[83:84], s[8:9], v[130:131]
	v_add_f64 v[2:3], v[122:123], v[2:3]
	v_mul_f64 v[122:123], v[116:117], s[24:25]
	v_mul_f64 v[134:135], v[108:109], s[22:23]
	v_add_f64 v[0:1], v[6:7], v[16:17]
	v_mul_f64 v[16:17], v[118:119], s[22:23]
	v_add_f64 v[6:7], v[14:15], v[20:21]
	v_fma_f64 v[14:15], v[74:75], s[6:7], v[128:129]
	v_fma_f64 v[20:21], v[64:65], s[0:1], v[126:127]
	v_mul_f64 v[126:127], v[112:113], s[12:13]
	v_fma_f64 v[128:129], v[74:75], s[6:7], -v[128:129]
	v_add_f64 v[4:5], v[124:125], v[4:5]
	v_fma_f64 v[132:133], v[50:51], s[8:9], v[122:123]
	v_fma_f64 v[124:125], v[68:69], s[2:3], v[16:17]
	v_fma_f64 v[16:17], v[68:69], s[2:3], -v[16:17]
	v_add_f64 v[14:15], v[12:13], v[14:15]
	v_mul_f64 v[138:139], v[110:111], s[24:25]
	v_fma_f64 v[136:137], v[106:107], s[6:7], -v[126:127]
	v_add_f64 v[128:129], v[12:13], v[128:129]
	v_add_f64 v[4:5], v[130:131], v[4:5]
	v_mul_f64 v[130:131], v[98:99], s[34:35]
	v_fma_f64 v[140:141], v[102:103], s[2:3], -v[134:135]
	v_fma_f64 v[126:127], v[106:107], s[6:7], v[126:127]
	v_add_f64 v[14:15], v[124:125], v[14:15]
	v_fma_f64 v[122:123], v[50:51], s[8:9], -v[122:123]
	v_add_f64 v[136:137], v[8:9], v[136:137]
	v_add_f64 v[16:17], v[16:17], v[128:129]
	v_fma_f64 v[18:19], v[114:115], s[2:3], v[18:19]
	v_add_f64 v[4:5], v[20:21], v[4:5]
	v_mul_f64 v[20:21], v[88:89], s[18:19]
	v_fma_f64 v[124:125], v[42:43], s[14:15], v[130:131]
	v_add_f64 v[14:15], v[132:133], v[14:15]
	v_mul_f64 v[144:145], v[104:105], s[34:35]
	v_fma_f64 v[146:147], v[94:95], s[8:9], -v[138:139]
	v_add_f64 v[136:137], v[140:141], v[136:137]
	v_fma_f64 v[134:135], v[102:103], s[2:3], v[134:135]
	v_add_f64 v[126:127], v[8:9], v[126:127]
	v_fma_f64 v[130:131], v[42:43], s[14:15], -v[130:131]
	v_add_f64 v[16:17], v[122:123], v[16:17]
	v_mul_f64 v[132:133], v[76:77], s[4:5]
	v_fma_f64 v[142:143], v[34:35], s[16:17], v[20:21]
	v_add_f64 v[14:15], v[124:125], v[14:15]
	v_mul_f64 v[128:129], v[96:97], s[18:19]
	v_fma_f64 v[140:141], v[83:84], s[14:15], -v[144:145]
	v_add_f64 v[136:137], v[146:147], v[136:137]
	v_add_f64 v[4:5], v[18:19], v[4:5]
	v_fma_f64 v[18:19], v[94:95], s[8:9], v[138:139]
	v_add_f64 v[126:127], v[134:135], v[126:127]
	v_fma_f64 v[20:21], v[34:35], s[16:17], -v[20:21]
	v_add_f64 v[130:131], v[130:131], v[16:17]
	v_fma_f64 v[124:125], v[32:33], s[0:1], v[132:133]
	v_add_f64 v[14:15], v[142:143], v[14:15]
	v_fma_f64 v[142:143], v[64:65], s[16:17], -v[128:129]
	v_add_f64 v[136:137], v[140:141], v[136:137]
	v_fma_f64 v[134:135], v[83:84], s[14:15], v[144:145]
	v_add_f64 v[18:19], v[18:19], v[126:127]
	v_mul_f64 v[126:127], v[120:121], s[4:5]
	v_add_f64 v[20:21], v[20:21], v[130:131]
	v_mul_f64 v[130:131], v[112:113], s[4:5]
	;; [unrolled: 2-line block ×4, first 2 shown]
	v_add_f64 v[18:19], v[134:135], v[18:19]
	v_fma_f64 v[134:135], v[74:75], s[0:1], v[126:127]
	v_mul_f64 v[142:143], v[116:117], s[18:19]
	v_fma_f64 v[140:141], v[106:107], s[0:1], -v[130:131]
	v_fma_f64 v[126:127], v[74:75], s[0:1], -v[126:127]
	v_mul_f64 v[146:147], v[110:111], s[18:19]
	v_fma_f64 v[148:149], v[102:103], s[6:7], -v[138:139]
	v_fma_f64 v[144:145], v[68:69], s[6:7], v[136:137]
	v_mul_f64 v[150:151], v[98:99], s[28:29]
	v_add_f64 v[134:135], v[12:13], v[134:135]
	v_fma_f64 v[152:153], v[50:51], s[16:17], v[142:143]
	v_add_f64 v[140:141], v[8:9], v[140:141]
	v_fma_f64 v[136:137], v[68:69], s[6:7], -v[136:137]
	v_add_f64 v[126:127], v[12:13], v[126:127]
	v_fma_f64 v[154:155], v[94:95], s[16:17], -v[146:147]
	v_fma_f64 v[142:143], v[50:51], s[16:17], -v[142:143]
	v_fma_f64 v[156:157], v[42:43], s[2:3], v[150:151]
	v_add_f64 v[134:135], v[144:145], v[134:135]
	v_mul_f64 v[144:145], v[104:105], s[28:29]
	v_add_f64 v[140:141], v[148:149], v[140:141]
	v_mul_f64 v[148:149], v[88:89], s[34:35]
	;; [unrolled: 2-line block ×3, first 2 shown]
	v_mul_f64 v[122:123], v[92:93], s[4:5]
	v_fma_f64 v[128:129], v[64:65], s[16:17], v[128:129]
	v_add_f64 v[134:135], v[152:153], v[134:135]
	v_fma_f64 v[152:153], v[83:84], s[2:3], -v[144:145]
	v_add_f64 v[140:141], v[154:155], v[140:141]
	v_mul_f64 v[154:155], v[76:77], s[26:27]
	v_fma_f64 v[158:159], v[34:35], s[14:15], v[148:149]
	v_fma_f64 v[150:151], v[42:43], s[2:3], -v[150:151]
	v_add_f64 v[126:127], v[142:143], v[126:127]
	v_mul_f64 v[142:143], v[92:93], s[26:27]
	v_add_f64 v[134:135], v[156:157], v[134:135]
	v_fma_f64 v[156:157], v[64:65], s[14:15], -v[136:137]
	v_add_f64 v[140:141], v[152:153], v[140:141]
	v_fma_f64 v[14:15], v[114:115], s[0:1], -v[122:123]
	v_fma_f64 v[132:133], v[32:33], s[0:1], -v[132:133]
	v_fma_f64 v[122:123], v[114:115], s[0:1], v[122:123]
	v_add_f64 v[18:19], v[128:129], v[18:19]
	v_fma_f64 v[128:129], v[34:35], s[14:15], -v[148:149]
	v_add_f64 v[126:127], v[150:151], v[126:127]
	v_fma_f64 v[148:149], v[32:33], s[8:9], v[154:155]
	v_add_f64 v[134:135], v[158:159], v[134:135]
	v_fma_f64 v[150:151], v[114:115], s[8:9], -v[142:143]
	v_add_f64 v[140:141], v[156:157], v[140:141]
	;; [unrolled: 4-line block ×3, first 2 shown]
	v_add_f64 v[124:125], v[132:133], v[20:21]
	v_add_f64 v[122:123], v[122:123], v[18:19]
	;; [unrolled: 1-line block ×4, first 2 shown]
	v_fma_f64 v[132:133], v[102:103], s[6:7], v[138:139]
	v_mul_f64 v[134:135], v[120:121], s[28:29]
	v_add_f64 v[130:131], v[8:9], v[130:131]
	v_mul_f64 v[140:141], v[112:113], s[28:29]
	v_add_f64 v[128:129], v[152:153], v[126:127]
	v_fma_f64 v[126:127], v[114:115], s[8:9], v[142:143]
	v_fma_f64 v[138:139], v[83:84], s[2:3], v[144:145]
	v_fma_f64 v[142:143], v[94:95], s[16:17], v[146:147]
	v_mul_f64 v[144:145], v[118:119], s[20:21]
	v_fma_f64 v[146:147], v[74:75], s[2:3], v[134:135]
	v_add_f64 v[130:131], v[132:133], v[130:131]
	v_mul_f64 v[132:133], v[108:109], s[20:21]
	v_fma_f64 v[148:149], v[106:107], s[2:3], -v[140:141]
	s_mov_b32 s27, 0x3fedeba7
	s_mov_b32 s26, s4
	v_fma_f64 v[134:135], v[74:75], s[2:3], -v[134:135]
	v_fma_f64 v[152:153], v[68:69], s[14:15], v[144:145]
	v_add_f64 v[146:147], v[12:13], v[146:147]
	v_add_f64 v[130:131], v[142:143], v[130:131]
	v_mul_f64 v[142:143], v[110:111], s[26:27]
	v_fma_f64 v[154:155], v[102:103], s[14:15], -v[132:133]
	v_add_f64 v[148:149], v[8:9], v[148:149]
	v_mul_f64 v[150:151], v[116:117], s[26:27]
	v_fma_f64 v[144:145], v[68:69], s[14:15], -v[144:145]
	v_add_f64 v[134:135], v[12:13], v[134:135]
	v_add_f64 v[146:147], v[152:153], v[146:147]
	v_fma_f64 v[136:137], v[64:65], s[14:15], v[136:137]
	v_fma_f64 v[152:153], v[94:95], s[0:1], -v[142:143]
	v_mul_f64 v[156:157], v[98:99], s[18:19]
	v_add_f64 v[148:149], v[154:155], v[148:149]
	v_fma_f64 v[158:159], v[50:51], s[0:1], v[150:151]
	v_add_f64 v[130:131], v[138:139], v[130:131]
	v_fma_f64 v[150:151], v[50:51], s[0:1], -v[150:151]
	v_add_f64 v[134:135], v[144:145], v[134:135]
	v_mul_f64 v[138:139], v[104:105], s[18:19]
	v_fma_f64 v[140:141], v[106:107], s[2:3], v[140:141]
	v_fma_f64 v[160:161], v[42:43], s[16:17], v[156:157]
	v_add_f64 v[148:149], v[152:153], v[148:149]
	v_mul_f64 v[152:153], v[76:77], s[12:13]
	v_add_f64 v[130:131], v[136:137], v[130:131]
	v_fma_f64 v[156:157], v[42:43], s[16:17], -v[156:157]
	v_add_f64 v[134:135], v[150:151], v[134:135]
	v_mul_f64 v[154:155], v[88:89], s[24:25]
	v_mul_f64 v[174:175], v[110:111], s[20:21]
	v_add_f64 v[146:147], v[158:159], v[146:147]
	v_mul_f64 v[158:159], v[96:97], s[24:25]
	v_fma_f64 v[136:137], v[32:33], s[6:7], v[152:153]
	v_fma_f64 v[150:151], v[32:33], s[6:7], -v[152:153]
	v_mul_f64 v[152:153], v[112:113], s[24:25]
	v_add_f64 v[134:135], v[156:157], v[134:135]
	v_mul_f64 v[156:157], v[108:109], s[4:5]
	v_fma_f64 v[162:163], v[83:84], s[16:17], -v[138:139]
	v_fma_f64 v[132:133], v[102:103], s[14:15], v[132:133]
	v_add_f64 v[140:141], v[8:9], v[140:141]
	v_fma_f64 v[164:165], v[34:35], s[8:9], v[154:155]
	v_fma_f64 v[154:155], v[34:35], s[8:9], -v[154:155]
	v_fma_f64 v[168:169], v[106:107], s[8:9], -v[152:153]
	v_fma_f64 v[180:181], v[94:95], s[14:15], -v[174:175]
	v_fma_f64 v[176:177], v[102:103], s[0:1], -v[156:157]
	v_add_f64 v[146:147], v[160:161], v[146:147]
	v_mul_f64 v[160:161], v[92:93], s[12:13]
	v_fma_f64 v[166:167], v[64:65], s[8:9], -v[158:159]
	v_add_f64 v[144:145], v[162:163], v[148:149]
	v_fma_f64 v[142:143], v[94:95], s[0:1], v[142:143]
	v_add_f64 v[168:169], v[8:9], v[168:169]
	v_add_f64 v[132:133], v[132:133], v[140:141]
	v_add_f64 v[134:135], v[154:155], v[134:135]
	v_mul_f64 v[154:155], v[92:93], s[18:19]
	v_fma_f64 v[148:149], v[114:115], s[6:7], -v[160:161]
	v_mul_f64 v[162:163], v[120:121], s[24:25]
	v_add_f64 v[144:145], v[166:167], v[144:145]
	v_fma_f64 v[138:139], v[83:84], s[16:17], v[138:139]
	v_add_f64 v[168:169], v[176:177], v[168:169]
	v_add_f64 v[132:133], v[142:143], v[132:133]
	;; [unrolled: 1-line block ×5, first 2 shown]
	v_mul_f64 v[164:165], v[118:119], s[4:5]
	v_fma_f64 v[166:167], v[74:75], s[8:9], v[162:163]
	v_fma_f64 v[158:159], v[64:65], s[8:9], v[158:159]
	v_add_f64 v[168:169], v[180:181], v[168:169]
	v_mul_f64 v[180:181], v[76:77], s[18:19]
	s_mov_b32 s19, 0xbfddbe06
	v_mul_f64 v[120:121], v[120:121], s[18:19]
	v_add_f64 v[132:133], v[138:139], v[132:133]
	v_add_f64 v[126:127], v[126:127], v[130:131]
	;; [unrolled: 1-line block ×3, first 2 shown]
	v_fma_f64 v[144:145], v[74:75], s[8:9], -v[162:163]
	v_fma_f64 v[148:149], v[106:107], s[8:9], v[152:153]
	v_mul_f64 v[118:119], v[118:119], s[24:25]
	v_add_f64 v[85:86], v[86:87], v[100:101]
	v_fma_f64 v[152:153], v[74:75], s[16:17], v[120:121]
	v_add_f64 v[81:82], v[81:82], v[90:91]
	v_mul_f64 v[170:171], v[116:117], s[20:21]
	v_fma_f64 v[172:173], v[68:69], s[0:1], v[164:165]
	v_add_f64 v[166:167], v[12:13], v[166:167]
	v_fma_f64 v[160:161], v[114:115], s[6:7], v[160:161]
	v_add_f64 v[158:159], v[158:159], v[132:133]
	v_add_f64 v[132:133], v[136:137], v[146:147]
	;; [unrolled: 1-line block ×3, first 2 shown]
	v_fma_f64 v[150:151], v[68:69], s[0:1], -v[164:165]
	v_add_f64 v[144:145], v[12:13], v[144:145]
	v_fma_f64 v[156:157], v[102:103], s[0:1], v[156:157]
	v_add_f64 v[148:149], v[8:9], v[148:149]
	v_mul_f64 v[116:117], v[116:117], s[28:29]
	v_fma_f64 v[162:163], v[68:69], s[8:9], v[118:119]
	v_add_f64 v[152:153], v[12:13], v[152:153]
	v_add_f64 v[72:73], v[72:73], v[85:86]
	;; [unrolled: 1-line block ×3, first 2 shown]
	v_mul_f64 v[178:179], v[98:99], s[30:31]
	v_add_f64 v[166:167], v[172:173], v[166:167]
	v_mul_f64 v[172:173], v[104:105], s[30:31]
	v_add_f64 v[134:135], v[160:161], v[158:159]
	v_fma_f64 v[160:161], v[50:51], s[14:15], -v[170:171]
	v_add_f64 v[144:145], v[150:151], v[144:145]
	v_fma_f64 v[150:151], v[94:95], s[14:15], v[174:175]
	v_add_f64 v[148:149], v[156:157], v[148:149]
	v_mul_f64 v[98:99], v[98:99], s[4:5]
	v_fma_f64 v[156:157], v[50:51], s[2:3], v[116:117]
	v_add_f64 v[152:153], v[162:163], v[152:153]
	v_add_f64 v[66:67], v[66:67], v[72:73]
	;; [unrolled: 1-line block ×3, first 2 shown]
	v_mul_f64 v[142:143], v[88:89], s[22:23]
	v_add_f64 v[144:145], v[160:161], v[144:145]
	v_fma_f64 v[160:161], v[83:84], s[6:7], v[172:173]
	v_add_f64 v[90:91], v[150:151], v[148:149]
	v_mul_f64 v[87:88], v[88:89], s[12:13]
	v_fma_f64 v[100:101], v[42:43], s[0:1], v[98:99]
	v_add_f64 v[148:149], v[156:157], v[152:153]
	v_mul_f64 v[72:73], v[112:113], s[18:19]
	v_add_f64 v[60:61], v[60:61], v[66:67]
	v_add_f64 v[58:59], v[58:59], v[62:63]
	v_fma_f64 v[140:141], v[50:51], s[14:15], v[170:171]
	v_add_f64 v[81:82], v[160:161], v[90:91]
	v_fma_f64 v[85:86], v[34:35], s[6:7], v[87:88]
	v_mul_f64 v[62:63], v[108:109], s[24:25]
	v_add_f64 v[89:90], v[100:101], v[148:149]
	v_fma_f64 v[66:67], v[106:107], s[16:17], -v[72:73]
	v_fma_f64 v[74:75], v[74:75], s[16:17], -v[120:121]
	v_fma_f64 v[72:73], v[106:107], s[16:17], v[72:73]
	v_add_f64 v[56:57], v[56:57], v[60:61]
	v_add_f64 v[54:55], v[54:55], v[58:59]
	;; [unrolled: 1-line block ×3, first 2 shown]
	v_mul_f64 v[166:167], v[96:97], s[22:23]
	v_add_f64 v[85:86], v[85:86], v[89:90]
	v_mul_f64 v[89:90], v[92:93], s[20:21]
	v_mul_f64 v[91:92], v[96:97], s[12:13]
	;; [unrolled: 1-line block ×4, first 2 shown]
	v_fma_f64 v[58:59], v[102:103], s[8:9], -v[62:63]
	v_add_f64 v[60:61], v[8:9], v[66:67]
	v_fma_f64 v[66:67], v[68:69], s[8:9], -v[118:119]
	v_add_f64 v[12:13], v[12:13], v[74:75]
	v_fma_f64 v[62:63], v[102:103], s[8:9], v[62:63]
	v_add_f64 v[8:9], v[8:9], v[72:73]
	v_add_f64 v[46:47], v[46:47], v[56:57]
	v_add_f64 v[52:53], v[52:53], v[54:55]
	v_fma_f64 v[176:177], v[42:43], s[6:7], v[178:179]
	v_fma_f64 v[182:183], v[83:84], s[6:7], -v[172:173]
	v_fma_f64 v[54:55], v[94:95], s[2:3], -v[104:105]
	v_add_f64 v[56:57], v[58:59], v[60:61]
	v_fma_f64 v[50:51], v[50:51], s[2:3], -v[116:117]
	v_add_f64 v[12:13], v[66:67], v[12:13]
	v_fma_f64 v[58:59], v[94:95], s[2:3], v[104:105]
	v_add_f64 v[8:9], v[62:63], v[8:9]
	v_add_f64 v[40:41], v[40:41], v[46:47]
	;; [unrolled: 1-line block ×3, first 2 shown]
	v_fma_f64 v[138:139], v[34:35], s[2:3], v[142:143]
	v_add_f64 v[140:141], v[176:177], v[140:141]
	v_fma_f64 v[176:177], v[64:65], s[2:3], -v[166:167]
	v_add_f64 v[168:169], v[182:183], v[168:169]
	v_fma_f64 v[158:159], v[42:43], s[6:7], -v[178:179]
	v_fma_f64 v[46:47], v[83:84], s[0:1], -v[96:97]
	v_add_f64 v[52:53], v[54:55], v[56:57]
	v_fma_f64 v[42:43], v[42:43], s[0:1], -v[98:99]
	v_add_f64 v[12:13], v[50:51], v[12:13]
	v_fma_f64 v[50:51], v[83:84], s[0:1], v[96:97]
	v_add_f64 v[8:9], v[58:59], v[8:9]
	v_add_f64 v[36:37], v[36:37], v[40:41]
	;; [unrolled: 1-line block ×3, first 2 shown]
	v_fma_f64 v[182:183], v[32:33], s[16:17], v[180:181]
	v_add_f64 v[138:139], v[138:139], v[140:141]
	v_fma_f64 v[146:147], v[114:115], s[16:17], -v[154:155]
	v_add_f64 v[168:169], v[176:177], v[168:169]
	v_fma_f64 v[142:143], v[34:35], s[2:3], -v[142:143]
	v_fma_f64 v[150:151], v[64:65], s[2:3], v[166:167]
	v_mul_f64 v[76:77], v[76:77], s[20:21]
	v_fma_f64 v[40:41], v[64:65], s[6:7], -v[91:92]
	v_add_f64 v[44:45], v[46:47], v[52:53]
	v_fma_f64 v[34:35], v[34:35], s[6:7], -v[87:88]
	v_add_f64 v[12:13], v[42:43], v[12:13]
	v_fma_f64 v[42:43], v[64:65], s[6:7], v[91:92]
	v_add_f64 v[8:9], v[50:51], v[8:9]
	v_add_f64 v[30:31], v[30:31], v[36:37]
	;; [unrolled: 1-line block ×6, first 2 shown]
	v_fma_f64 v[146:147], v[32:33], s[16:17], -v[180:181]
	v_add_f64 v[70:71], v[150:151], v[81:82]
	v_fma_f64 v[81:82], v[32:33], s[14:15], v[76:77]
	v_add_f64 v[38:39], v[40:41], v[44:45]
	v_fma_f64 v[32:33], v[32:33], s[14:15], -v[76:77]
	v_add_f64 v[12:13], v[34:35], v[12:13]
	v_fma_f64 v[40:41], v[114:115], s[14:15], v[89:90]
	v_add_f64 v[8:9], v[42:43], v[8:9]
	v_add_f64 v[42:43], v[26:27], v[30:31]
	;; [unrolled: 1-line block ×4, first 2 shown]
	v_fma_f64 v[142:143], v[114:115], s[16:17], v[154:155]
	v_add_f64 v[30:31], v[81:82], v[85:86]
	v_add_f64 v[34:35], v[32:33], v[12:13]
	v_mov_b32_e32 v81, 0
	v_add_f64 v[32:33], v[40:41], v[8:9]
	v_lshlrev_b64 v[8:9], 4, v[48:49]
	v_add_f64 v[12:13], v[22:23], v[42:43]
	v_add_f64 v[10:11], v[10:11], v[44:45]
	v_mov_b32_e32 v22, s11
	v_add_co_u32_e32 v23, vcc, s10, v8
	v_addc_co_u32_e32 v22, vcc, v22, v9, vcc
	v_lshlrev_b64 v[8:9], 4, v[78:79]
	v_add_f64 v[26:27], v[146:147], v[100:101]
	v_add_f64 v[24:25], v[142:143], v[70:71]
	v_add_co_u32_e32 v23, vcc, v23, v8
	v_addc_co_u32_e32 v22, vcc, v22, v9, vcc
	v_lshlrev_b64 v[8:9], 4, v[80:81]
	v_fma_f64 v[36:37], v[114:115], s[14:15], -v[89:90]
	v_add_co_u32_e32 v8, vcc, v23, v8
	v_addc_co_u32_e32 v9, vcc, v22, v9, vcc
	s_movk_i32 s0, 0x1000
	global_store_dwordx4 v[8:9], v[10:13], off
	global_store_dwordx4 v[8:9], v[32:35], off offset:2288
	v_add_co_u32_e32 v10, vcc, s0, v8
	v_addc_co_u32_e32 v11, vcc, 0, v9, vcc
	s_movk_i32 s0, 0x2000
	global_store_dwordx4 v[10:11], v[24:27], off offset:480
	global_store_dwordx4 v[10:11], v[134:137], off offset:2768
	v_add_co_u32_e32 v10, vcc, s0, v8
	v_addc_co_u32_e32 v11, vcc, 0, v9, vcc
	s_movk_i32 s0, 0x3000
	global_store_dwordx4 v[10:11], v[126:129], off offset:960
	global_store_dwordx4 v[10:11], v[122:125], off offset:3248
	v_add_co_u32_e32 v10, vcc, s0, v8
	v_add_f64 v[28:29], v[36:37], v[38:39]
	v_addc_co_u32_e32 v11, vcc, 0, v9, vcc
	s_movk_i32 s0, 0x4000
	global_store_dwordx4 v[10:11], v[4:7], off offset:1440
	global_store_dwordx4 v[10:11], v[0:3], off offset:3728
	s_nop 0
	v_add_co_u32_e32 v0, vcc, s0, v8
	v_addc_co_u32_e32 v1, vcc, 0, v9, vcc
	s_movk_i32 s0, 0x5000
	global_store_dwordx4 v[0:1], v[14:17], off offset:1920
	v_add_co_u32_e32 v0, vcc, s0, v8
	v_addc_co_u32_e32 v1, vcc, 0, v9, vcc
	global_store_dwordx4 v[0:1], v[18:21], off offset:112
	global_store_dwordx4 v[0:1], v[130:133], off offset:2400
	v_add_co_u32_e32 v0, vcc, 0x6000, v8
	v_addc_co_u32_e32 v1, vcc, 0, v9, vcc
	global_store_dwordx4 v[0:1], v[138:141], off offset:592
	global_store_dwordx4 v[0:1], v[28:31], off offset:2880
	s_endpgm
	.section	.rodata,"a",@progbits
	.p2align	6, 0x0
	.amdhsa_kernel fft_rtc_back_len1859_factors_13_11_13_wgs_169_tpt_169_halfLds_dp_op_CI_CI_unitstride_sbrr_dirReg
		.amdhsa_group_segment_fixed_size 0
		.amdhsa_private_segment_fixed_size 0
		.amdhsa_kernarg_size 104
		.amdhsa_user_sgpr_count 6
		.amdhsa_user_sgpr_private_segment_buffer 1
		.amdhsa_user_sgpr_dispatch_ptr 0
		.amdhsa_user_sgpr_queue_ptr 0
		.amdhsa_user_sgpr_kernarg_segment_ptr 1
		.amdhsa_user_sgpr_dispatch_id 0
		.amdhsa_user_sgpr_flat_scratch_init 0
		.amdhsa_user_sgpr_private_segment_size 0
		.amdhsa_uses_dynamic_stack 0
		.amdhsa_system_sgpr_private_segment_wavefront_offset 0
		.amdhsa_system_sgpr_workgroup_id_x 1
		.amdhsa_system_sgpr_workgroup_id_y 0
		.amdhsa_system_sgpr_workgroup_id_z 0
		.amdhsa_system_sgpr_workgroup_info 0
		.amdhsa_system_vgpr_workitem_id 0
		.amdhsa_next_free_vgpr 184
		.amdhsa_next_free_sgpr 48
		.amdhsa_reserve_vcc 1
		.amdhsa_reserve_flat_scratch 0
		.amdhsa_float_round_mode_32 0
		.amdhsa_float_round_mode_16_64 0
		.amdhsa_float_denorm_mode_32 3
		.amdhsa_float_denorm_mode_16_64 3
		.amdhsa_dx10_clamp 1
		.amdhsa_ieee_mode 1
		.amdhsa_fp16_overflow 0
		.amdhsa_exception_fp_ieee_invalid_op 0
		.amdhsa_exception_fp_denorm_src 0
		.amdhsa_exception_fp_ieee_div_zero 0
		.amdhsa_exception_fp_ieee_overflow 0
		.amdhsa_exception_fp_ieee_underflow 0
		.amdhsa_exception_fp_ieee_inexact 0
		.amdhsa_exception_int_div_zero 0
	.end_amdhsa_kernel
	.text
.Lfunc_end0:
	.size	fft_rtc_back_len1859_factors_13_11_13_wgs_169_tpt_169_halfLds_dp_op_CI_CI_unitstride_sbrr_dirReg, .Lfunc_end0-fft_rtc_back_len1859_factors_13_11_13_wgs_169_tpt_169_halfLds_dp_op_CI_CI_unitstride_sbrr_dirReg
                                        ; -- End function
	.section	.AMDGPU.csdata,"",@progbits
; Kernel info:
; codeLenInByte = 13524
; NumSgprs: 52
; NumVgprs: 184
; ScratchSize: 0
; MemoryBound: 1
; FloatMode: 240
; IeeeMode: 1
; LDSByteSize: 0 bytes/workgroup (compile time only)
; SGPRBlocks: 6
; VGPRBlocks: 45
; NumSGPRsForWavesPerEU: 52
; NumVGPRsForWavesPerEU: 184
; Occupancy: 1
; WaveLimiterHint : 1
; COMPUTE_PGM_RSRC2:SCRATCH_EN: 0
; COMPUTE_PGM_RSRC2:USER_SGPR: 6
; COMPUTE_PGM_RSRC2:TRAP_HANDLER: 0
; COMPUTE_PGM_RSRC2:TGID_X_EN: 1
; COMPUTE_PGM_RSRC2:TGID_Y_EN: 0
; COMPUTE_PGM_RSRC2:TGID_Z_EN: 0
; COMPUTE_PGM_RSRC2:TIDIG_COMP_CNT: 0
	.type	__hip_cuid_4198419d38e9f793,@object ; @__hip_cuid_4198419d38e9f793
	.section	.bss,"aw",@nobits
	.globl	__hip_cuid_4198419d38e9f793
__hip_cuid_4198419d38e9f793:
	.byte	0                               ; 0x0
	.size	__hip_cuid_4198419d38e9f793, 1

	.ident	"AMD clang version 19.0.0git (https://github.com/RadeonOpenCompute/llvm-project roc-6.4.0 25133 c7fe45cf4b819c5991fe208aaa96edf142730f1d)"
	.section	".note.GNU-stack","",@progbits
	.addrsig
	.addrsig_sym __hip_cuid_4198419d38e9f793
	.amdgpu_metadata
---
amdhsa.kernels:
  - .args:
      - .actual_access:  read_only
        .address_space:  global
        .offset:         0
        .size:           8
        .value_kind:     global_buffer
      - .offset:         8
        .size:           8
        .value_kind:     by_value
      - .actual_access:  read_only
        .address_space:  global
        .offset:         16
        .size:           8
        .value_kind:     global_buffer
      - .actual_access:  read_only
        .address_space:  global
        .offset:         24
        .size:           8
        .value_kind:     global_buffer
      - .actual_access:  read_only
        .address_space:  global
        .offset:         32
        .size:           8
        .value_kind:     global_buffer
      - .offset:         40
        .size:           8
        .value_kind:     by_value
      - .actual_access:  read_only
        .address_space:  global
        .offset:         48
        .size:           8
        .value_kind:     global_buffer
      - .actual_access:  read_only
        .address_space:  global
        .offset:         56
        .size:           8
        .value_kind:     global_buffer
      - .offset:         64
        .size:           4
        .value_kind:     by_value
      - .actual_access:  read_only
        .address_space:  global
        .offset:         72
        .size:           8
        .value_kind:     global_buffer
      - .actual_access:  read_only
        .address_space:  global
        .offset:         80
        .size:           8
        .value_kind:     global_buffer
      - .actual_access:  read_only
        .address_space:  global
        .offset:         88
        .size:           8
        .value_kind:     global_buffer
      - .actual_access:  write_only
        .address_space:  global
        .offset:         96
        .size:           8
        .value_kind:     global_buffer
    .group_segment_fixed_size: 0
    .kernarg_segment_align: 8
    .kernarg_segment_size: 104
    .language:       OpenCL C
    .language_version:
      - 2
      - 0
    .max_flat_workgroup_size: 169
    .name:           fft_rtc_back_len1859_factors_13_11_13_wgs_169_tpt_169_halfLds_dp_op_CI_CI_unitstride_sbrr_dirReg
    .private_segment_fixed_size: 0
    .sgpr_count:     52
    .sgpr_spill_count: 0
    .symbol:         fft_rtc_back_len1859_factors_13_11_13_wgs_169_tpt_169_halfLds_dp_op_CI_CI_unitstride_sbrr_dirReg.kd
    .uniform_work_group_size: 1
    .uses_dynamic_stack: false
    .vgpr_count:     184
    .vgpr_spill_count: 0
    .wavefront_size: 64
amdhsa.target:   amdgcn-amd-amdhsa--gfx906
amdhsa.version:
  - 1
  - 2
...

	.end_amdgpu_metadata
